;; amdgpu-corpus repo=ROCm/rocFFT kind=compiled arch=gfx1201 opt=O3
	.text
	.amdgcn_target "amdgcn-amd-amdhsa--gfx1201"
	.amdhsa_code_object_version 6
	.protected	bluestein_single_fwd_len528_dim1_sp_op_CI_CI ; -- Begin function bluestein_single_fwd_len528_dim1_sp_op_CI_CI
	.globl	bluestein_single_fwd_len528_dim1_sp_op_CI_CI
	.p2align	8
	.type	bluestein_single_fwd_len528_dim1_sp_op_CI_CI,@function
bluestein_single_fwd_len528_dim1_sp_op_CI_CI: ; @bluestein_single_fwd_len528_dim1_sp_op_CI_CI
; %bb.0:
	s_load_b128 s[8:11], s[0:1], 0x28
	v_mul_u32_u24_e32 v1, 0x556, v0
	s_mov_b32 s2, exec_lo
	v_mov_b32_e32 v53, 0
	s_delay_alu instid0(VALU_DEP_2) | instskip(NEXT) | instid1(VALU_DEP_1)
	v_lshrrev_b32_e32 v1, 16, v1
	v_add_nc_u32_e32 v52, ttmp9, v1
	s_wait_kmcnt 0x0
	s_delay_alu instid0(VALU_DEP_1)
	v_cmpx_gt_u64_e64 s[8:9], v[52:53]
	s_cbranch_execz .LBB0_31
; %bb.1:
	s_clause 0x1
	s_load_b128 s[4:7], s[0:1], 0x18
	s_load_b64 s[16:17], s[0:1], 0x0
	v_mul_lo_u16 v1, v1, 48
	s_movk_i32 s2, 0xfea4
	s_mov_b32 s3, -1
	s_delay_alu instid0(VALU_DEP_1) | instskip(NEXT) | instid1(VALU_DEP_1)
	v_sub_nc_u16 v22, v0, v1
	v_and_b32_e32 v74, 0xffff, v22
	s_wait_kmcnt 0x0
	s_load_b128 s[12:15], s[4:5], 0x0
	s_wait_kmcnt 0x0
	v_mad_co_u64_u32 v[0:1], null, s14, v52, 0
	v_mad_co_u64_u32 v[2:3], null, s12, v74, 0
	s_mul_u64 s[4:5], s[12:13], 0x84
	s_mul_u64 s[2:3], s[12:13], s[2:3]
	s_delay_alu instid0(SALU_CYCLE_1) | instskip(NEXT) | instid1(VALU_DEP_1)
	s_lshl_b64 s[2:3], s[2:3], 3
	v_mad_co_u64_u32 v[4:5], null, s15, v52, v[1:2]
	s_delay_alu instid0(VALU_DEP_1) | instskip(NEXT) | instid1(VALU_DEP_3)
	v_mov_b32_e32 v1, v4
	v_mad_co_u64_u32 v[5:6], null, s13, v74, v[3:4]
	v_lshlrev_b32_e32 v73, 3, v74
	s_delay_alu instid0(VALU_DEP_3)
	v_lshlrev_b64_e32 v[0:1], 3, v[0:1]
	global_load_b64 v[65:66], v73, s[16:17]
	v_mov_b32_e32 v3, v5
	s_clause 0x2
	global_load_b64 v[69:70], v73, s[16:17] offset:1056
	global_load_b64 v[67:68], v73, s[16:17] offset:2112
	global_load_b64 v[57:58], v73, s[16:17] offset:3168
	v_add_co_u32 v0, vcc_lo, s10, v0
	v_add_co_ci_u32_e32 v1, vcc_lo, s11, v1, vcc_lo
	v_lshlrev_b64_e32 v[2:3], 3, v[2:3]
	s_lshl_b64 s[10:11], s[4:5], 3
	s_delay_alu instid0(VALU_DEP_1) | instskip(SKIP_1) | instid1(VALU_DEP_2)
	v_add_co_u32 v0, vcc_lo, v0, v2
	s_wait_alu 0xfffd
	v_add_co_ci_u32_e32 v1, vcc_lo, v1, v3, vcc_lo
	s_wait_alu 0xfffe
	s_delay_alu instid0(VALU_DEP_2) | instskip(SKIP_1) | instid1(VALU_DEP_2)
	v_add_co_u32 v2, vcc_lo, v0, s10
	s_wait_alu 0xfffd
	v_add_co_ci_u32_e32 v3, vcc_lo, s11, v1, vcc_lo
	s_delay_alu instid0(VALU_DEP_2) | instskip(SKIP_1) | instid1(VALU_DEP_2)
	v_add_co_u32 v4, vcc_lo, v2, s10
	s_wait_alu 0xfffd
	v_add_co_ci_u32_e32 v5, vcc_lo, s11, v3, vcc_lo
	s_clause 0x1
	global_load_b64 v[6:7], v[0:1], off
	global_load_b64 v[2:3], v[2:3], off
	v_add_co_u32 v0, vcc_lo, v4, s10
	s_wait_alu 0xfffd
	v_add_co_ci_u32_e32 v1, vcc_lo, s11, v5, vcc_lo
	s_clause 0x1
	global_load_b64 v[4:5], v[4:5], off
	global_load_b64 v[10:11], v[0:1], off
	v_add_co_u32 v8, vcc_lo, v0, s2
	s_wait_alu 0xfffd
	v_add_co_ci_u32_e32 v9, vcc_lo, s3, v1, vcc_lo
	s_delay_alu instid0(VALU_DEP_2) | instskip(SKIP_1) | instid1(VALU_DEP_2)
	v_add_co_u32 v0, vcc_lo, v8, s10
	s_wait_alu 0xfffd
	v_add_co_ci_u32_e32 v1, vcc_lo, s11, v9, vcc_lo
	s_delay_alu instid0(VALU_DEP_2) | instskip(SKIP_1) | instid1(VALU_DEP_2)
	v_add_co_u32 v14, vcc_lo, v0, s10
	s_wait_alu 0xfffd
	v_add_co_ci_u32_e32 v15, vcc_lo, s11, v1, vcc_lo
	s_wait_loadcnt 0x3
	v_mul_f32_e32 v18, v7, v66
	v_mul_f32_e32 v19, v6, v66
	s_wait_loadcnt 0x2
	v_mul_f32_e32 v20, v3, v70
	s_delay_alu instid0(VALU_DEP_3)
	v_fmac_f32_e32 v18, v6, v65
	s_clause 0x1
	global_load_b64 v[55:56], v73, s[16:17] offset:1440
	global_load_b64 v[63:64], v73, s[16:17] offset:384
	global_load_b64 v[8:9], v[8:9], off
	global_load_b64 v[12:13], v[0:1], off
	s_wait_loadcnt 0x5
	v_mul_f32_e32 v23, v4, v68
	v_add_co_u32 v0, vcc_lo, v14, s10
	s_wait_alu 0xfffd
	v_add_co_ci_u32_e32 v1, vcc_lo, s11, v15, vcc_lo
	s_clause 0x1
	global_load_b64 v[59:60], v73, s[16:17] offset:3552
	global_load_b64 v[61:62], v73, s[16:17] offset:2496
	global_load_b64 v[14:15], v[14:15], off
	global_load_b64 v[16:17], v[0:1], off
	s_load_b64 s[8:9], s[0:1], 0x38
	s_load_b128 s[4:7], s[6:7], 0x0
	v_fma_f32 v19, v7, v65, -v19
	v_mul_f32_e32 v7, v2, v70
	v_fmac_f32_e32 v20, v2, v69
	v_mul_f32_e32 v2, v5, v68
	s_wait_loadcnt 0x8
	v_mul_f32_e32 v6, v11, v58
	v_mul_f32_e32 v24, v10, v58
	v_add_co_u32 v53, s12, s16, v73
	v_fmac_f32_e32 v2, v4, v67
	v_fma_f32 v21, v3, v69, -v7
	v_fma_f32 v3, v5, v67, -v23
	v_fmac_f32_e32 v6, v10, v57
	v_fma_f32 v7, v11, v57, -v24
	s_wait_alu 0xf1ff
	v_add_co_ci_u32_e64 v54, null, s17, 0, s12
	v_cmp_gt_u16_e32 vcc_lo, 36, v22
	s_wait_loadcnt 0x5
	v_mul_f32_e32 v4, v9, v64
	v_mul_f32_e32 v5, v8, v64
	s_wait_loadcnt 0x4
	v_mul_f32_e32 v10, v13, v56
	ds_store_b64 v73, v[20:21] offset:1056
	ds_store_b64 v73, v[2:3] offset:2112
	;; [unrolled: 1-line block ×3, first 2 shown]
	v_mul_f32_e32 v3, v12, v56
	s_wait_loadcnt 0x1
	v_mul_f32_e32 v7, v14, v62
	v_mul_f32_e32 v2, v15, v62
	v_fmac_f32_e32 v4, v8, v63
	s_wait_loadcnt 0x0
	v_mul_f32_e32 v6, v17, v60
	v_mul_f32_e32 v8, v16, v60
	v_fma_f32 v5, v9, v63, -v5
	v_fmac_f32_e32 v10, v12, v55
	v_fma_f32 v11, v13, v55, -v3
	v_fmac_f32_e32 v2, v14, v61
	;; [unrolled: 2-line block ×3, first 2 shown]
	v_fma_f32 v7, v17, v59, -v8
	ds_store_2addr_b64 v73, v[18:19], v[4:5] offset1:48
	ds_store_b64 v73, v[10:11] offset:1440
	ds_store_b64 v73, v[2:3] offset:2496
	ds_store_b64 v73, v[6:7] offset:3552
	s_and_saveexec_b32 s12, vcc_lo
	s_cbranch_execz .LBB0_3
; %bb.2:
	v_add_co_u32 v0, s2, v0, s2
	s_wait_alu 0xf1ff
	v_add_co_ci_u32_e64 v1, s2, s3, v1, s2
	s_delay_alu instid0(VALU_DEP_2) | instskip(SKIP_1) | instid1(VALU_DEP_2)
	v_add_co_u32 v2, s2, v0, s10
	s_wait_alu 0xf1ff
	v_add_co_ci_u32_e64 v3, s2, s11, v1, s2
	global_load_b64 v[4:5], v[53:54], off offset:768
	global_load_b64 v[0:1], v[0:1], off
	global_load_b64 v[6:7], v[2:3], off
	v_add_co_u32 v2, s2, v2, s10
	s_wait_alu 0xf1ff
	v_add_co_ci_u32_e64 v3, s2, s11, v3, s2
	global_load_b64 v[8:9], v[53:54], off offset:1824
	v_add_co_u32 v10, s2, v2, s10
	s_wait_alu 0xf1ff
	v_add_co_ci_u32_e64 v11, s2, s11, v3, s2
	global_load_b64 v[2:3], v[2:3], off
	s_clause 0x1
	global_load_b64 v[12:13], v[53:54], off offset:2880
	global_load_b64 v[14:15], v[53:54], off offset:3936
	global_load_b64 v[10:11], v[10:11], off
	s_wait_loadcnt 0x6
	v_mul_f32_e32 v16, v1, v5
	v_mul_f32_e32 v17, v0, v5
	s_wait_loadcnt 0x4
	v_mul_f32_e32 v5, v7, v9
	s_delay_alu instid0(VALU_DEP_1) | instskip(SKIP_3) | instid1(VALU_DEP_1)
	v_fmac_f32_e32 v5, v6, v8
	v_fmac_f32_e32 v16, v0, v4
	s_wait_loadcnt 0x2
	v_mul_f32_e32 v0, v3, v13
	v_fmac_f32_e32 v0, v2, v12
	v_fma_f32 v17, v1, v4, -v17
	v_mul_f32_e32 v1, v6, v9
	s_wait_loadcnt 0x0
	v_dual_mul_f32 v4, v2, v13 :: v_dual_mul_f32 v9, v11, v15
	v_dual_mul_f32 v13, v10, v15 :: v_dual_add_nc_u32 v2, 0x800, v73
	s_delay_alu instid0(VALU_DEP_3) | instskip(NEXT) | instid1(VALU_DEP_3)
	v_fma_f32 v6, v7, v8, -v1
	v_fma_f32 v1, v3, v12, -v4
	s_delay_alu instid0(VALU_DEP_4) | instskip(NEXT) | instid1(VALU_DEP_4)
	v_fmac_f32_e32 v9, v10, v14
	v_fma_f32 v10, v11, v14, -v13
	ds_store_2addr_b64 v73, v[16:17], v[5:6] offset0:96 offset1:228
	ds_store_2addr_b64 v2, v[0:1], v[9:10] offset0:104 offset1:236
.LBB0_3:
	s_wait_alu 0xfffe
	s_or_b32 exec_lo, exec_lo, s12
	v_add_nc_u32_e32 v4, 0x800, v73
	global_wb scope:SCOPE_SE
	s_wait_dscnt 0x0
	s_wait_kmcnt 0x0
	s_barrier_signal -1
	s_barrier_wait -1
	global_inv scope:SCOPE_SE
	ds_load_2addr_b64 v[8:11], v73 offset1:48
	ds_load_2addr_b64 v[12:15], v73 offset0:132 offset1:180
	ds_load_2addr_b64 v[16:19], v4 offset0:8 offset1:56
	;; [unrolled: 1-line block ×3, first 2 shown]
                                        ; implicit-def: $vgpr6
                                        ; implicit-def: $vgpr2
	s_and_saveexec_b32 s2, vcc_lo
	s_cbranch_execz .LBB0_5
; %bb.4:
	ds_load_2addr_b64 v[0:3], v73 offset0:96 offset1:228
	ds_load_2addr_b64 v[4:7], v4 offset0:104 offset1:236
.LBB0_5:
	s_wait_alu 0xfffe
	s_or_b32 exec_lo, exec_lo, s2
	s_wait_dscnt 0x1
	v_dual_sub_f32 v24, v8, v16 :: v_dual_sub_f32 v25, v9, v17
	s_wait_dscnt 0x0
	v_dual_sub_f32 v20, v12, v20 :: v_dual_sub_f32 v21, v13, v21
	v_sub_f32_e32 v26, v10, v18
	s_delay_alu instid0(VALU_DEP_3) | instskip(SKIP_1) | instid1(VALU_DEP_4)
	v_fma_f32 v8, v8, 2.0, -v24
	v_fma_f32 v9, v9, 2.0, -v25
	v_fma_f32 v12, v12, 2.0, -v20
	v_fma_f32 v13, v13, 2.0, -v21
	v_dual_sub_f32 v27, v14, v22 :: v_dual_sub_f32 v28, v11, v19
	v_add_f32_e32 v19, v25, v20
	s_delay_alu instid0(VALU_DEP_3) | instskip(SKIP_1) | instid1(VALU_DEP_4)
	v_dual_sub_f32 v16, v8, v12 :: v_dual_sub_f32 v17, v9, v13
	v_dual_sub_f32 v18, v24, v21 :: v_dual_sub_f32 v7, v3, v7
	v_fma_f32 v11, v11, 2.0, -v28
	s_delay_alu instid0(VALU_DEP_3) | instskip(SKIP_4) | instid1(VALU_DEP_3)
	v_fma_f32 v12, v8, 2.0, -v16
	v_fma_f32 v8, v10, 2.0, -v26
	v_dual_sub_f32 v10, v15, v23 :: v_dual_sub_f32 v5, v1, v5
	v_fma_f32 v13, v14, 2.0, -v27
	v_dual_sub_f32 v6, v2, v6 :: v_dual_add_f32 v23, v28, v27
	v_fma_f32 v21, v15, 2.0, -v10
	v_sub_f32_e32 v4, v0, v4
	v_fma_f32 v1, v1, 2.0, -v5
	s_delay_alu instid0(VALU_DEP_4)
	v_fma_f32 v2, v2, 2.0, -v6
	v_fma_f32 v3, v3, 2.0, -v7
	v_sub_f32_e32 v21, v11, v21
	v_sub_f32_e32 v20, v8, v13
	v_fma_f32 v0, v0, 2.0, -v4
	v_add_co_u32 v33, null, v74, 48
	v_add_co_u32 v32, null, 0x60, v74
	v_fma_f32 v13, v9, 2.0, -v17
	v_sub_f32_e32 v9, v1, v3
	v_fma_f32 v14, v24, 2.0, -v18
	v_fma_f32 v15, v25, 2.0, -v19
	v_fma_f32 v24, v8, 2.0, -v20
	v_dual_sub_f32 v22, v26, v10 :: v_dual_lshlrev_b32 v81, 5, v33
	v_fma_f32 v25, v11, 2.0, -v21
	v_dual_sub_f32 v8, v0, v2 :: v_dual_add_f32 v11, v6, v5
	v_dual_sub_f32 v10, v4, v7 :: v_dual_lshlrev_b32 v29, 2, v33
	v_fma_f32 v27, v28, 2.0, -v23
	s_delay_alu instid0(VALU_DEP_3) | instskip(SKIP_1) | instid1(VALU_DEP_4)
	v_fma_f32 v0, v0, 2.0, -v8
	v_fma_f32 v1, v1, 2.0, -v9
	;; [unrolled: 1-line block ×4, first 2 shown]
	v_lshlrev_b32_e32 v80, 5, v74
	v_lshlrev_b32_e32 v28, 2, v74
	;; [unrolled: 1-line block ×3, first 2 shown]
	v_fma_f32 v26, v26, 2.0, -v22
	global_wb scope:SCOPE_SE
	s_barrier_signal -1
	s_barrier_wait -1
	global_inv scope:SCOPE_SE
	ds_store_b128 v80, v[12:15]
	ds_store_b128 v80, v[16:19] offset:16
	ds_store_b128 v81, v[24:27]
	ds_store_b128 v81, v[20:23] offset:16
	s_and_saveexec_b32 s2, vcc_lo
	s_cbranch_execz .LBB0_7
; %bb.6:
	ds_store_b128 v79, v[0:3]
	ds_store_b128 v79, v[8:11] offset:16
.LBB0_7:
	s_wait_alu 0xfffe
	s_or_b32 exec_lo, exec_lo, s2
	v_add_nc_u32_e32 v4, 0x800, v73
	global_wb scope:SCOPE_SE
	s_wait_dscnt 0x0
	s_barrier_signal -1
	s_barrier_wait -1
	global_inv scope:SCOPE_SE
	ds_load_2addr_b64 v[12:15], v73 offset1:48
	ds_load_2addr_b64 v[20:23], v73 offset0:132 offset1:180
	ds_load_2addr_b64 v[16:19], v4 offset0:8 offset1:56
	;; [unrolled: 1-line block ×3, first 2 shown]
	s_load_b64 s[2:3], s[0:1], 0x8
	s_and_saveexec_b32 s0, vcc_lo
	s_cbranch_execz .LBB0_9
; %bb.8:
	ds_load_2addr_b64 v[0:3], v73 offset0:96 offset1:228
	ds_load_2addr_b64 v[8:11], v4 offset0:104 offset1:236
.LBB0_9:
	s_wait_alu 0xfffe
	s_or_b32 exec_lo, exec_lo, s0
	v_and_b32_e32 v75, 3, v74
	s_wait_kmcnt 0x0
	s_delay_alu instid0(VALU_DEP_1)
	v_mad_co_u64_u32 v[30:31], null, v75, 24, s[2:3]
	v_and_or_b32 v28, 0xf0, v28, v75
	s_clause 0x1
	global_load_b128 v[4:7], v[30:31], off
	global_load_b64 v[71:72], v[30:31], off offset:16
	v_lshlrev_b32_e32 v82, 3, v28
	v_lshlrev_b32_e32 v77, 2, v32
	global_wb scope:SCOPE_SE
	s_wait_loadcnt_dscnt 0x0
	s_barrier_signal -1
	s_barrier_wait -1
	global_inv scope:SCOPE_SE
	v_mul_f32_e32 v30, v17, v7
	v_mul_f32_e32 v28, v21, v5
	v_and_or_b32 v29, 0x1f0, v29, v75
	v_dual_mul_f32 v38, v19, v7 :: v_dual_mul_f32 v41, v26, v72
	v_dual_mul_f32 v31, v16, v7 :: v_dual_mul_f32 v34, v25, v72
	v_mul_f32_e32 v37, v22, v5
	s_delay_alu instid0(VALU_DEP_4)
	v_lshlrev_b32_e32 v78, 3, v29
	v_mul_f32_e32 v29, v20, v5
	v_dual_mul_f32 v35, v24, v72 :: v_dual_mul_f32 v36, v23, v5
	v_dual_mul_f32 v39, v18, v7 :: v_dual_mul_f32 v40, v27, v72
	v_dual_mul_f32 v42, v3, v5 :: v_dual_mul_f32 v45, v8, v7
	v_dual_mul_f32 v43, v2, v5 :: v_dual_mul_f32 v44, v9, v7
	v_dual_mul_f32 v46, v11, v72 :: v_dual_fmac_f32 v31, v17, v6
	v_fma_f32 v18, v18, v6, -v38
	v_fma_f32 v20, v20, v4, -v28
	;; [unrolled: 1-line block ×4, first 2 shown]
	v_fmac_f32_e32 v43, v3, v4
	v_fma_f32 v3, v10, v71, -v46
	v_fmac_f32_e32 v39, v19, v6
	v_fmac_f32_e32 v29, v21, v4
	v_fma_f32 v21, v22, v4, -v36
	v_fma_f32 v19, v26, v71, -v40
	v_fmac_f32_e32 v37, v23, v4
	v_fma_f32 v22, v2, v4, -v42
	v_fma_f32 v2, v8, v6, -v44
	v_fmac_f32_e32 v41, v27, v71
	v_sub_f32_e32 v23, v14, v18
	v_dual_mul_f32 v47, v10, v72 :: v_dual_sub_f32 v10, v20, v17
	v_dual_fmac_f32 v35, v25, v71 :: v_dual_sub_f32 v8, v12, v16
	v_sub_f32_e32 v16, v21, v19
	v_dual_sub_f32 v26, v0, v2 :: v_dual_sub_f32 v17, v37, v41
	v_dual_fmac_f32 v45, v9, v6 :: v_dual_sub_f32 v18, v22, v3
	v_fma_f32 v34, v14, 2.0, -v23
	v_sub_f32_e32 v9, v13, v31
	v_sub_f32_e32 v24, v15, v39
	v_fma_f32 v25, v12, 2.0, -v8
	v_fma_f32 v20, v20, 2.0, -v10
	v_fmac_f32_e32 v47, v11, v71
	v_add_f32_e32 v3, v9, v10
	v_fma_f32 v10, v21, 2.0, -v16
	v_sub_f32_e32 v12, v23, v17
	v_sub_f32_e32 v14, v25, v20
	v_sub_f32_e32 v27, v1, v45
	v_fma_f32 v0, v0, 2.0, -v26
	v_fma_f32 v22, v22, 2.0, -v18
	v_sub_f32_e32 v11, v29, v35
	v_fma_f32 v35, v15, 2.0, -v24
	v_fma_f32 v1, v1, 2.0, -v27
	;; [unrolled: 1-line block ×3, first 2 shown]
	s_delay_alu instid0(VALU_DEP_4)
	v_fma_f32 v31, v29, 2.0, -v11
	v_add_f32_e32 v29, v27, v18
	v_sub_f32_e32 v18, v34, v10
	v_sub_f32_e32 v10, v0, v22
	;; [unrolled: 1-line block ×4, first 2 shown]
	v_fma_f32 v30, v13, 2.0, -v9
	v_add_f32_e32 v13, v24, v16
	v_fma_f32 v22, v25, 2.0, -v14
	v_fma_f32 v16, v8, 2.0, -v2
	v_sub_f32_e32 v28, v26, v19
	v_fma_f32 v11, v37, 2.0, -v17
	v_fma_f32 v36, v43, 2.0, -v19
	v_sub_f32_e32 v15, v30, v31
	;; [unrolled: 3-line block ×3, first 2 shown]
	v_sub_f32_e32 v11, v1, v36
	v_fma_f32 v9, v27, 2.0, -v29
	v_fma_f32 v23, v30, 2.0, -v15
	;; [unrolled: 1-line block ×5, first 2 shown]
	ds_store_2addr_b64 v82, v[14:15], v[2:3] offset0:8 offset1:12
	ds_store_2addr_b64 v82, v[22:23], v[16:17] offset1:4
	ds_store_2addr_b64 v78, v[24:25], v[20:21] offset1:4
	ds_store_2addr_b64 v78, v[18:19], v[12:13] offset0:8 offset1:12
	s_and_saveexec_b32 s0, vcc_lo
	s_cbranch_execz .LBB0_11
; %bb.10:
	v_and_or_b32 v2, 0x3f0, v77, v75
	v_fma_f32 v1, v1, 2.0, -v11
	v_fma_f32 v0, v0, 2.0, -v10
	s_delay_alu instid0(VALU_DEP_3)
	v_lshlrev_b32_e32 v2, 3, v2
	ds_store_2addr_b64 v2, v[0:1], v[8:9] offset1:4
	ds_store_2addr_b64 v2, v[10:11], v[28:29] offset0:8 offset1:12
.LBB0_11:
	s_wait_alu 0xfffe
	s_or_b32 exec_lo, exec_lo, s0
	v_add_nc_u32_e32 v1, 0x800, v73
	v_add_nc_u32_e32 v0, 0x400, v73
	global_wb scope:SCOPE_SE
	s_wait_dscnt 0x0
	s_barrier_signal -1
	s_barrier_wait -1
	global_inv scope:SCOPE_SE
	ds_load_2addr_b64 v[16:19], v73 offset1:48
	ds_load_2addr_b64 v[12:15], v73 offset0:96 offset1:176
	ds_load_2addr_b64 v[24:27], v1 offset0:96 offset1:144
	ds_load_2addr_b64 v[20:23], v0 offset0:96 offset1:144
	ds_load_b64 v[30:31], v73 offset:3584
	v_cmp_gt_u16_e64 s0, 32, v74
	s_delay_alu instid0(VALU_DEP_1)
	s_and_saveexec_b32 s1, s0
	s_cbranch_execz .LBB0_13
; %bb.12:
	ds_load_2addr_b64 v[8:11], v0 offset0:16 offset1:192
	ds_load_b64 v[28:29], v73 offset:3968
.LBB0_13:
	s_wait_alu 0xfffe
	s_or_b32 exec_lo, exec_lo, s1
	v_and_b32_e32 v76, 15, v74
	v_lshrrev_b32_e32 v34, 4, v74
	v_lshrrev_b32_e32 v33, 4, v33
	;; [unrolled: 1-line block ×3, first 2 shown]
	v_add_co_u32 v35, null, 0x90, v74
	v_lshlrev_b32_e32 v0, 4, v76
	v_mul_u32_u24_e32 v34, 48, v34
	v_mul_u32_u24_e32 v33, 48, v33
	;; [unrolled: 1-line block ×3, first 2 shown]
	v_lshrrev_b32_e32 v83, 4, v35
	global_load_b128 v[0:3], v0, s[2:3] offset:96
	global_wb scope:SCOPE_SE
	s_wait_loadcnt_dscnt 0x0
	s_barrier_signal -1
	s_barrier_wait -1
	global_inv scope:SCOPE_SE
	v_mul_f32_e32 v37, v24, v3
	v_mul_f32_e32 v35, v14, v1
	v_or_b32_e32 v34, v34, v76
	v_or_b32_e32 v33, v33, v76
	;; [unrolled: 1-line block ×3, first 2 shown]
	v_mul_f32_e32 v36, v25, v3
	v_dual_mul_f32 v38, v21, v1 :: v_dual_fmac_f32 v35, v15, v0
	v_dual_mul_f32 v39, v20, v1 :: v_dual_lshlrev_b32 v86, 3, v34
	v_lshlrev_b32_e32 v85, 3, v33
	v_dual_mul_f32 v41, v26, v3 :: v_dual_lshlrev_b32 v84, 3, v32
	v_dual_mul_f32 v34, v15, v1 :: v_dual_mul_f32 v45, v30, v3
	v_dual_mul_f32 v40, v27, v3 :: v_dual_mul_f32 v43, v22, v1
	;; [unrolled: 1-line block ×4, first 2 shown]
	v_dual_mul_f32 v46, v11, v1 :: v_dual_fmac_f32 v37, v25, v2
	v_dual_mul_f32 v32, v28, v3 :: v_dual_fmac_f32 v39, v21, v0
	v_fma_f32 v34, v14, v0, -v34
	v_fma_f32 v24, v24, v2, -v36
	;; [unrolled: 1-line block ×4, first 2 shown]
	v_fmac_f32_e32 v41, v27, v2
	v_dual_fmac_f32 v43, v23, v0 :: v_dual_fmac_f32 v32, v29, v2
	v_fmac_f32_e32 v45, v31, v2
	v_fma_f32 v14, v10, v0, -v46
	v_fmac_f32_e32 v33, v11, v0
	v_fma_f32 v10, v28, v2, -v47
	v_add_f32_e32 v28, v18, v15
	v_fma_f32 v20, v22, v0, -v42
	v_fma_f32 v26, v30, v2, -v44
	v_dual_add_f32 v21, v16, v34 :: v_dual_add_f32 v22, v34, v24
	v_sub_f32_e32 v29, v35, v37
	v_dual_add_f32 v23, v17, v35 :: v_dual_add_f32 v36, v39, v41
	v_dual_add_f32 v27, v35, v37 :: v_dual_add_f32 v44, v13, v43
	v_dual_sub_f32 v30, v34, v24 :: v_dual_add_f32 v31, v15, v25
	v_dual_sub_f32 v46, v20, v26 :: v_dual_sub_f32 v35, v39, v41
	v_add_f32_e32 v48, v33, v32
	v_dual_sub_f32 v42, v43, v45 :: v_dual_add_f32 v47, v14, v10
	v_add_f32_e32 v34, v19, v39
	v_dual_add_f32 v40, v20, v26 :: v_dual_add_f32 v43, v43, v45
	v_dual_sub_f32 v38, v15, v25 :: v_dual_add_f32 v39, v12, v20
	v_sub_f32_e32 v11, v33, v32
	v_add_f32_e32 v20, v21, v24
	v_add_f32_e32 v24, v28, v25
	v_fma_f32 v22, -0.5, v22, v16
	v_sub_f32_e32 v15, v14, v10
	v_fma_f32 v18, -0.5, v31, v18
	v_add_f32_e32 v21, v23, v37
	v_fma_f32 v23, -0.5, v27, v17
	v_fmac_f32_e32 v19, -0.5, v36
	v_fma_f32 v16, -0.5, v47, v8
	v_fma_f32 v17, -0.5, v48, v9
	;; [unrolled: 1-line block ×3, first 2 shown]
	v_fmac_f32_e32 v13, -0.5, v43
	v_dual_add_f32 v25, v34, v41 :: v_dual_add_f32 v26, v39, v26
	v_dual_add_f32 v27, v44, v45 :: v_dual_fmamk_f32 v34, v35, 0x3f5db3d7, v18
	v_fmamk_f32 v28, v29, 0x3f5db3d7, v22
	v_dual_fmac_f32 v22, 0xbf5db3d7, v29 :: v_dual_fmamk_f32 v29, v30, 0xbf5db3d7, v23
	v_fmac_f32_e32 v23, 0x3f5db3d7, v30
	v_dual_fmac_f32 v18, 0xbf5db3d7, v35 :: v_dual_fmamk_f32 v35, v38, 0xbf5db3d7, v19
	v_fmamk_f32 v30, v11, 0xbf5db3d7, v16
	v_fmamk_f32 v31, v15, 0x3f5db3d7, v17
	v_dual_fmac_f32 v19, 0x3f5db3d7, v38 :: v_dual_fmamk_f32 v36, v42, 0x3f5db3d7, v12
	v_dual_fmamk_f32 v37, v46, 0xbf5db3d7, v13 :: v_dual_fmac_f32 v12, 0xbf5db3d7, v42
	v_fmac_f32_e32 v13, 0x3f5db3d7, v46
	ds_store_2addr_b64 v86, v[20:21], v[28:29] offset1:16
	ds_store_b64 v86, v[22:23] offset:256
	ds_store_2addr_b64 v85, v[24:25], v[34:35] offset1:16
	ds_store_b64 v85, v[18:19] offset:256
	;; [unrolled: 2-line block ×3, first 2 shown]
	s_and_saveexec_b32 s1, s0
	s_cbranch_execz .LBB0_15
; %bb.14:
	v_mul_u32_u24_e32 v12, 48, v83
	v_dual_mul_f32 v13, 0x3f5db3d7, v15 :: v_dual_add_f32 v14, v8, v14
	v_mul_f32_e32 v11, 0x3f5db3d7, v11
	s_delay_alu instid0(VALU_DEP_3) | instskip(NEXT) | instid1(VALU_DEP_3)
	v_or_b32_e32 v12, v12, v76
	v_dual_add_f32 v10, v14, v10 :: v_dual_add_f32 v15, v9, v33
	s_delay_alu instid0(VALU_DEP_3) | instskip(NEXT) | instid1(VALU_DEP_3)
	v_dual_add_f32 v8, v11, v16 :: v_dual_sub_f32 v9, v17, v13
	v_lshlrev_b32_e32 v12, 3, v12
	s_delay_alu instid0(VALU_DEP_3)
	v_add_f32_e32 v11, v15, v32
	ds_store_2addr_b64 v12, v[10:11], v[8:9] offset1:16
	ds_store_b64 v12, v[30:31] offset:256
.LBB0_15:
	s_wait_alu 0xfffe
	s_or_b32 exec_lo, exec_lo, s1
	v_mad_co_u64_u32 v[16:17], null, 0x50, v74, s[2:3]
	global_wb scope:SCOPE_SE
	s_wait_dscnt 0x0
	s_barrier_signal -1
	s_barrier_wait -1
	global_inv scope:SCOPE_SE
	s_add_nc_u64 s[2:3], s[16:17], 0x1080
	s_clause 0x4
	global_load_b128 v[24:27], v[16:17], off offset:352
	global_load_b128 v[20:23], v[16:17], off offset:368
	;; [unrolled: 1-line block ×5, first 2 shown]
	ds_load_2addr_b64 v[32:35], v73 offset1:48
	ds_load_2addr_b64 v[48:51], v73 offset0:96 offset1:144
	s_wait_loadcnt_dscnt 0x400
	v_dual_mul_f32 v39, v49, v27 :: v_dual_add_nc_u32 v44, 0x800, v73
	ds_load_2addr_b64 v[87:90], v73 offset0:192 offset1:240
	ds_load_2addr_b64 v[91:94], v44 offset0:32 offset1:80
	;; [unrolled: 1-line block ×3, first 2 shown]
	ds_load_b64 v[99:100], v73 offset:3840
	v_mul_f32_e32 v38, v35, v25
	v_dual_mul_f32 v101, v34, v25 :: v_dual_mul_f32 v102, v48, v27
	s_wait_loadcnt 0x3
	v_mul_f32_e32 v43, v51, v21
	v_mul_f32_e32 v47, v50, v21
	v_fma_f32 v110, v48, v26, -v39
	v_fmac_f32_e32 v102, v49, v26
	s_wait_loadcnt_dscnt 0x102
	v_dual_mul_f32 v42, v87, v23 :: v_dual_mul_f32 v29, v93, v9
	s_wait_loadcnt_dscnt 0x0
	v_dual_mul_f32 v36, v97, v17 :: v_dual_mul_f32 v37, v99, v19
	v_mul_f32_e32 v108, v100, v19
	v_mul_f32_e32 v45, v88, v23
	v_dual_mul_f32 v103, v90, v13 :: v_dual_mul_f32 v40, v91, v15
	v_dual_mul_f32 v41, v89, v13 :: v_dual_mul_f32 v106, v96, v11
	;; [unrolled: 1-line block ×3, first 2 shown]
	v_mul_f32_e32 v107, v98, v17
	v_fma_f32 v109, v34, v24, -v38
	v_dual_fmac_f32 v101, v35, v24 :: v_dual_fmac_f32 v42, v88, v22
	v_fma_f32 v38, v99, v18, -v108
	v_dual_fmac_f32 v37, v100, v18 :: v_dual_fmac_f32 v36, v98, v16
	v_mul_f32_e32 v104, v92, v15
	v_fma_f32 v48, v50, v20, -v43
	v_dual_fmac_f32 v47, v51, v20 :: v_dual_fmac_f32 v40, v92, v14
	v_fma_f32 v46, v87, v22, -v45
	v_fma_f32 v45, v89, v12, -v103
	v_dual_fmac_f32 v41, v90, v12 :: v_dual_fmac_f32 v28, v96, v10
	v_dual_fmac_f32 v29, v94, v8 :: v_dual_add_f32 v50, v101, v37
	v_fma_f32 v34, v95, v10, -v106
	v_fma_f32 v39, v97, v16, -v107
	v_dual_add_f32 v51, v32, v109 :: v_dual_sub_f32 v88, v109, v38
	v_add_f32_e32 v87, v33, v101
	v_dual_sub_f32 v89, v101, v37 :: v_dual_sub_f32 v94, v47, v28
	v_fma_f32 v43, v91, v14, -v104
	v_fma_f32 v35, v93, v8, -v105
	v_dual_add_f32 v49, v109, v38 :: v_dual_sub_f32 v92, v110, v39
	v_add_f32_e32 v90, v110, v39
	v_dual_add_f32 v91, v102, v36 :: v_dual_sub_f32 v96, v48, v34
	v_dual_sub_f32 v93, v102, v36 :: v_dual_add_f32 v104, v45, v43
	v_dual_add_f32 v95, v48, v34 :: v_dual_sub_f32 v98, v42, v29
	v_sub_f32_e32 v103, v41, v40
	v_dual_add_f32 v51, v51, v110 :: v_dual_mul_f32 v110, 0xbf7d64f0, v89
	v_dual_add_f32 v87, v87, v102 :: v_dual_mul_f32 v112, 0xbf4178ce, v89
	v_dual_mul_f32 v102, 0xbf0a6770, v89 :: v_dual_mul_f32 v107, 0xbf0a6770, v88
	v_dual_mul_f32 v132, 0xbf0a6770, v98 :: v_dual_add_f32 v97, v47, v28
	v_sub_f32_e32 v100, v46, v35
	v_add_f32_e32 v101, v42, v29
	v_dual_sub_f32 v105, v45, v43 :: v_dual_mul_f32 v108, 0xbf68dda4, v89
	v_dual_mul_f32 v109, 0xbf68dda4, v88 :: v_dual_mul_f32 v114, 0xbf68dda4, v93
	v_dual_mul_f32 v111, 0xbf7d64f0, v88 :: v_dual_mul_f32 v122, 0xbf7d64f0, v94
	;; [unrolled: 1-line block ×4, first 2 shown]
	v_mul_f32_e32 v88, 0xbe903f40, v88
	v_mul_f32_e32 v117, 0xbf4178ce, v92
	v_dual_mul_f32 v118, 0x3e903f40, v93 :: v_dual_mul_f32 v119, 0x3e903f40, v92
	v_dual_mul_f32 v120, 0x3f7d64f0, v93 :: v_dual_mul_f32 v121, 0x3f7d64f0, v92
	v_mul_f32_e32 v93, 0x3f0a6770, v93
	v_dual_mul_f32 v123, 0x3e903f40, v94 :: v_dual_add_f32 v48, v51, v48
	v_dual_mul_f32 v124, 0x3f68dda4, v94 :: v_dual_mul_f32 v141, 0x3f68dda4, v103
	v_dual_mul_f32 v125, 0xbf0a6770, v94 :: v_dual_mul_f32 v136, 0xbf0a6770, v100
	v_mul_f32_e32 v94, 0xbf4178ce, v94
	v_mul_f32_e32 v126, 0xbf7d64f0, v96
	v_dual_mul_f32 v128, 0x3f68dda4, v96 :: v_dual_mul_f32 v145, 0x3f68dda4, v105
	v_fma_f32 v146, 0x3f575c64, v49, -v102
	v_mul_f32_e32 v115, 0xbf68dda4, v92
	v_mul_f32_e32 v92, 0x3f0a6770, v92
	v_dual_fmamk_f32 v147, v50, 0x3f575c64, v107 :: v_dual_fmac_f32 v102, 0x3f575c64, v49
	v_mul_f32_e32 v127, 0x3e903f40, v96
	v_mul_f32_e32 v129, 0xbf0a6770, v96
	v_dual_mul_f32 v96, 0xbf4178ce, v96 :: v_dual_add_f32 v47, v87, v47
	v_dual_add_f32 v99, v46, v35 :: v_dual_add_f32 v106, v41, v40
	v_dual_mul_f32 v133, 0xbe903f40, v98 :: v_dual_mul_f32 v142, 0xbe903f40, v105
	v_fma_f32 v107, 0x3f575c64, v50, -v107
	v_mul_f32_e32 v130, 0xbf4178ce, v98
	v_fma_f32 v148, 0x3ed4b147, v49, -v108
	v_dual_fmamk_f32 v149, v50, 0x3ed4b147, v109 :: v_dual_fmac_f32 v108, 0x3ed4b147, v49
	v_mul_f32_e32 v131, 0x3f7d64f0, v98
	v_mul_f32_e32 v98, 0x3f68dda4, v98
	;; [unrolled: 1-line block ×3, first 2 shown]
	v_fma_f32 v109, 0x3ed4b147, v50, -v109
	v_add_f32_e32 v108, v32, v108
	v_mul_f32_e32 v134, 0xbf4178ce, v100
	v_fma_f32 v150, 0xbe11bafb, v49, -v110
	v_dual_fmamk_f32 v151, v50, 0xbe11bafb, v111 :: v_dual_fmac_f32 v110, 0xbe11bafb, v49
	v_mul_f32_e32 v135, 0x3f7d64f0, v100
	v_mul_f32_e32 v137, 0xbe903f40, v100
	;; [unrolled: 1-line block ×3, first 2 shown]
	v_fma_f32 v111, 0xbe11bafb, v50, -v111
	v_mul_f32_e32 v144, 0xbf4178ce, v105
	v_fma_f32 v152, 0xbf27a4f4, v49, -v112
	v_mul_f32_e32 v140, 0xbf4178ce, v103
	v_mul_f32_e32 v103, 0xbf7d64f0, v103
	v_dual_fmamk_f32 v153, v50, 0xbf27a4f4, v113 :: v_dual_fmac_f32 v112, 0xbf27a4f4, v49
	v_mul_f32_e32 v143, 0x3f0a6770, v105
	v_dual_mul_f32 v105, 0xbf7d64f0, v105 :: v_dual_add_f32 v46, v48, v46
	v_fma_f32 v113, 0xbf27a4f4, v50, -v113
	v_fma_f32 v154, 0xbf75a155, v49, -v89
	v_fmamk_f32 v155, v50, 0xbf75a155, v88
	v_fmac_f32_e32 v89, 0xbf75a155, v49
	v_fma_f32 v49, 0xbf75a155, v50, -v88
	v_fma_f32 v50, 0x3ed4b147, v90, -v114
	v_fmamk_f32 v88, v91, 0x3ed4b147, v115
	v_fmac_f32_e32 v114, 0x3ed4b147, v90
	v_fma_f32 v115, 0x3ed4b147, v91, -v115
	v_fma_f32 v156, 0xbf27a4f4, v90, -v116
	v_dual_fmamk_f32 v157, v91, 0xbf27a4f4, v117 :: v_dual_fmac_f32 v116, 0xbf27a4f4, v90
	v_fma_f32 v117, 0xbf27a4f4, v91, -v117
	v_fma_f32 v158, 0xbf75a155, v90, -v118
	v_dual_fmamk_f32 v159, v91, 0xbf75a155, v119 :: v_dual_fmac_f32 v118, 0xbf75a155, v90
	;; [unrolled: 3-line block ×3, first 2 shown]
	v_fma_f32 v121, 0xbe11bafb, v91, -v121
	v_fma_f32 v162, 0x3f575c64, v90, -v93
	v_dual_fmac_f32 v93, 0x3f575c64, v90 :: v_dual_fmamk_f32 v90, v91, 0x3f575c64, v92
	v_fma_f32 v91, 0x3f575c64, v91, -v92
	v_fma_f32 v92, 0xbe11bafb, v95, -v122
	v_dual_fmac_f32 v122, 0xbe11bafb, v95 :: v_dual_fmamk_f32 v173, v101, 0xbe11bafb, v135
	v_fma_f32 v163, 0xbf75a155, v95, -v123
	v_fmac_f32_e32 v123, 0xbf75a155, v95
	v_fma_f32 v164, 0x3ed4b147, v95, -v124
	v_dual_fmac_f32 v124, 0x3ed4b147, v95 :: v_dual_fmamk_f32 v183, v106, 0x3ed4b147, v145
	v_fma_f32 v165, 0x3f575c64, v95, -v125
	v_dual_fmac_f32 v125, 0x3f575c64, v95 :: v_dual_fmamk_f32 v174, v101, 0x3f575c64, v136
	v_fma_f32 v166, 0xbf27a4f4, v95, -v94
	v_dual_fmac_f32 v94, 0xbf27a4f4, v95 :: v_dual_add_f32 v113, v33, v113
	v_dual_fmamk_f32 v95, v97, 0xbf75a155, v127 :: v_dual_add_f32 v42, v47, v42
	v_dual_fmamk_f32 v51, v97, 0xbe11bafb, v126 :: v_dual_fmamk_f32 v184, v106, 0xbe11bafb, v105
	v_fma_f32 v87, 0xbe11bafb, v97, -v126
	v_fma_f32 v126, 0xbf75a155, v97, -v127
	v_fmamk_f32 v127, v97, 0x3ed4b147, v128
	v_fma_f32 v128, 0x3ed4b147, v97, -v128
	v_fmamk_f32 v168, v97, 0xbf27a4f4, v96
	v_fma_f32 v96, 0xbf27a4f4, v97, -v96
	v_fma_f32 v169, 0xbe11bafb, v99, -v131
	v_fmac_f32_e32 v131, 0xbe11bafb, v99
	v_fma_f32 v170, 0x3f575c64, v99, -v132
	v_fmac_f32_e32 v132, 0x3f575c64, v99
	;; [unrolled: 2-line block ×3, first 2 shown]
	v_fma_f32 v172, 0x3ed4b147, v99, -v98
	v_dual_fmac_f32 v98, 0x3ed4b147, v99 :: v_dual_add_f32 v45, v46, v45
	v_fma_f32 v135, 0xbe11bafb, v101, -v135
	v_fma_f32 v136, 0x3f575c64, v101, -v136
	v_dual_fmamk_f32 v176, v101, 0x3ed4b147, v100 :: v_dual_add_f32 v41, v42, v41
	v_fma_f32 v100, 0x3ed4b147, v101, -v100
	v_fma_f32 v177, 0x3f575c64, v104, -v139
	v_fmac_f32_e32 v139, 0x3f575c64, v104
	v_fma_f32 v178, 0xbf27a4f4, v104, -v140
	v_fmac_f32_e32 v140, 0xbf27a4f4, v104
	;; [unrolled: 2-line block ×3, first 2 shown]
	v_fma_f32 v180, 0xbe11bafb, v104, -v103
	v_fma_f32 v145, 0x3ed4b147, v106, -v145
	;; [unrolled: 1-line block ×3, first 2 shown]
	v_dual_add_f32 v102, v32, v102 :: v_dual_fmamk_f32 v167, v97, 0x3f575c64, v129
	v_fma_f32 v129, 0x3f575c64, v97, -v129
	v_add_f32_e32 v107, v33, v107
	v_fma_f32 v97, 0xbf27a4f4, v99, -v130
	v_dual_fmac_f32 v130, 0xbf27a4f4, v99 :: v_dual_add_f32 v109, v33, v109
	v_fmamk_f32 v99, v101, 0xbf27a4f4, v134
	v_fma_f32 v134, 0xbf27a4f4, v101, -v134
	v_dual_fmac_f32 v103, 0xbe11bafb, v104 :: v_dual_add_f32 v110, v32, v110
	v_dual_fmamk_f32 v175, v101, 0xbf75a155, v137 :: v_dual_add_f32 v48, v114, v102
	v_fma_f32 v137, 0xbf75a155, v101, -v137
	v_fma_f32 v101, 0xbf75a155, v104, -v138
	v_fmac_f32_e32 v138, 0xbf75a155, v104
	v_fmamk_f32 v104, v106, 0xbf75a155, v142
	v_fma_f32 v142, 0xbf75a155, v106, -v142
	v_dual_add_f32 v111, v33, v111 :: v_dual_fmamk_f32 v182, v106, 0xbf27a4f4, v144
	v_fma_f32 v144, 0xbf27a4f4, v106, -v144
	v_dual_add_f32 v112, v32, v112 :: v_dual_fmamk_f32 v181, v106, 0x3f575c64, v143
	v_fma_f32 v143, 0x3f575c64, v106, -v143
	v_add_f32_e32 v106, v32, v146
	v_dual_add_f32 v146, v33, v147 :: v_dual_add_f32 v147, v32, v148
	v_dual_add_f32 v148, v33, v149 :: v_dual_add_f32 v149, v32, v150
	;; [unrolled: 1-line block ×6, first 2 shown]
	v_add_f32_e32 v46, v88, v146
	v_dual_add_f32 v88, v157, v148 :: v_dual_add_f32 v49, v115, v107
	v_add_f32_e32 v50, v156, v147
	v_dual_add_f32 v89, v116, v108 :: v_dual_add_f32 v106, v158, v149
	v_dual_add_f32 v102, v117, v109 :: v_dual_add_f32 v107, v159, v150
	;; [unrolled: 1-line block ×4, first 2 shown]
	v_add_f32_e32 v114, v162, v153
	v_dual_add_f32 v47, v90, v47 :: v_dual_add_f32 v32, v93, v32
	v_dual_add_f32 v33, v91, v33 :: v_dual_add_f32 v40, v41, v40
	;; [unrolled: 1-line block ×3, first 2 shown]
	v_add_f32_e32 v113, v121, v113
	v_add_f32_e32 v41, v92, v42
	;; [unrolled: 1-line block ×3, first 2 shown]
	v_dual_add_f32 v46, v87, v49 :: v_dual_add_f32 v45, v122, v48
	v_add_f32_e32 v48, v163, v50
	v_dual_add_f32 v49, v95, v88 :: v_dual_add_f32 v90, v128, v109
	v_dual_add_f32 v50, v123, v89 :: v_dual_add_f32 v51, v126, v102
	;; [unrolled: 1-line block ×5, first 2 shown]
	v_add_f32_e32 v47, v168, v47
	v_add_f32_e32 v35, v43, v35
	;; [unrolled: 1-line block ×3, first 2 shown]
	v_dual_add_f32 v93, v125, v112 :: v_dual_add_f32 v102, v166, v114
	v_add_f32_e32 v95, v129, v113
	v_add_f32_e32 v33, v96, v33
	v_dual_add_f32 v40, v97, v41 :: v_dual_add_f32 v41, v99, v42
	v_add_f32_e32 v42, v130, v45
	v_add_f32_e32 v43, v134, v46
	;; [unrolled: 3-line block ×4, first 2 shown]
	v_dual_add_f32 v87, v132, v89 :: v_dual_add_f32 v96, v35, v34
	v_dual_add_f32 v89, v136, v90 :: v_dual_add_f32 v88, v171, v91
	v_add_f32_e32 v90, v175, v92
	v_add_f32_e32 v97, v29, v28
	v_dual_add_f32 v91, v133, v93 :: v_dual_add_f32 v28, v138, v42
	v_dual_add_f32 v92, v137, v95 :: v_dual_add_f32 v93, v172, v102
	;; [unrolled: 1-line block ×3, first 2 shown]
	v_add_f32_e32 v29, v142, v43
	v_dual_add_f32 v43, v181, v46 :: v_dual_add_f32 v46, v182, v51
	v_dual_add_f32 v48, v183, v90 :: v_dual_add_f32 v39, v96, v39
	v_add_f32_e32 v51, v97, v36
	v_dual_add_f32 v95, v98, v32 :: v_dual_add_f32 v32, v140, v87
	s_delay_alu instid0(VALU_DEP_3) | instskip(NEXT) | instid1(VALU_DEP_3)
	v_dual_add_f32 v41, v104, v41 :: v_dual_add_f32 v38, v39, v38
	v_add_f32_e32 v39, v51, v37
	v_dual_add_f32 v42, v177, v45 :: v_dual_add_f32 v45, v178, v50
	v_dual_add_f32 v47, v179, v88 :: v_dual_add_f32 v36, v180, v93
	v_add_f32_e32 v37, v184, v94
	v_add_f32_e32 v35, v143, v49
	;; [unrolled: 1-line block ×3, first 2 shown]
	v_dual_add_f32 v50, v145, v92 :: v_dual_add_f32 v87, v103, v95
	v_add_f32_e32 v88, v105, v33
	v_add_f32_e32 v33, v144, v89
	ds_store_2addr_b64 v73, v[38:39], v[40:41] offset1:48
	ds_store_2addr_b64 v73, v[42:43], v[45:46] offset0:96 offset1:144
	ds_store_2addr_b64 v73, v[47:48], v[36:37] offset0:192 offset1:240
	;; [unrolled: 1-line block ×4, first 2 shown]
	ds_store_b64 v73, v[28:29] offset:3840
	global_wb scope:SCOPE_SE
	s_wait_dscnt 0x0
	s_barrier_signal -1
	s_barrier_wait -1
	global_inv scope:SCOPE_SE
	s_clause 0x7
	global_load_b64 v[40:41], v[53:54], off offset:4224
	global_load_b64 v[49:50], v73, s[2:3] offset:384
	global_load_b64 v[91:92], v73, s[2:3] offset:1056
	;; [unrolled: 1-line block ×7, first 2 shown]
	ds_load_2addr_b64 v[36:39], v73 offset1:48
	s_wait_loadcnt_dscnt 0x700
	v_mul_f32_e32 v43, v37, v41
	v_mul_f32_e32 v42, v36, v41
	s_delay_alu instid0(VALU_DEP_2) | instskip(NEXT) | instid1(VALU_DEP_2)
	v_fma_f32 v41, v36, v40, -v43
	v_fmac_f32_e32 v42, v37, v40
	s_wait_loadcnt 0x6
	v_mul_f32_e32 v36, v39, v50
	ds_store_b64 v73, v[41:42]
	ds_load_2addr_b64 v[40:43], v73 offset0:132 offset1:180
	ds_load_2addr_b64 v[45:48], v44 offset0:8 offset1:56
	;; [unrolled: 1-line block ×3, first 2 shown]
	v_mul_f32_e32 v37, v38, v50
	v_fma_f32 v36, v38, v49, -v36
	s_wait_loadcnt_dscnt 0x502
	s_delay_alu instid0(VALU_DEP_2)
	v_dual_fmac_f32 v37, v39, v49 :: v_dual_mul_f32 v38, v41, v92
	s_wait_loadcnt_dscnt 0x401
	v_dual_mul_f32 v50, v45, v94 :: v_dual_mul_f32 v39, v40, v92
	v_mul_f32_e32 v49, v46, v94
	s_wait_loadcnt 0x2
	v_mul_f32_e32 v104, v43, v98
	s_wait_dscnt 0x0
	v_dual_mul_f32 v94, v42, v98 :: v_dual_mul_f32 v103, v88, v96
	s_wait_loadcnt 0x0
	v_dual_mul_f32 v92, v87, v96 :: v_dual_mul_f32 v105, v48, v102
	v_mul_f32_e32 v96, v47, v102
	s_delay_alu instid0(VALU_DEP_3)
	v_fmac_f32_e32 v94, v43, v97
	v_mul_f32_e32 v102, v90, v100
	v_mul_f32_e32 v98, v89, v100
	v_fma_f32 v38, v40, v91, -v38
	v_dual_fmac_f32 v50, v46, v93 :: v_dual_fmac_f32 v39, v41, v91
	v_fmac_f32_e32 v96, v48, v101
	v_dual_fmac_f32 v92, v88, v95 :: v_dual_add_nc_u32 v51, 0x400, v73
	v_fma_f32 v49, v45, v93, -v49
	v_fma_f32 v93, v42, v97, -v104
	;; [unrolled: 1-line block ×5, first 2 shown]
	v_fmac_f32_e32 v98, v90, v99
	ds_store_2addr_b64 v73, v[36:37], v[38:39] offset0:48 offset1:132
	ds_store_2addr_b64 v51, v[93:94], v[49:50] offset0:52 offset1:136
	;; [unrolled: 1-line block ×3, first 2 shown]
	ds_store_b64 v73, v[97:98] offset:3552
	s_and_saveexec_b32 s1, vcc_lo
	s_cbranch_execz .LBB0_17
; %bb.16:
	s_wait_alu 0xfffe
	v_add_co_u32 v36, s2, s2, v73
	s_wait_alu 0xf1ff
	v_add_co_ci_u32_e64 v37, null, s3, 0, s2
	s_clause 0x3
	global_load_b64 v[40:41], v[36:37], off offset:768
	global_load_b64 v[42:43], v[36:37], off offset:1824
	;; [unrolled: 1-line block ×4, first 2 shown]
	ds_load_2addr_b64 v[36:39], v73 offset0:96 offset1:228
	s_wait_loadcnt_dscnt 0x300
	v_mul_f32_e32 v49, v37, v41
	s_wait_loadcnt 0x2
	v_dual_mul_f32 v50, v36, v41 :: v_dual_mul_f32 v51, v39, v43
	v_mul_f32_e32 v41, v38, v43
	s_delay_alu instid0(VALU_DEP_3) | instskip(NEXT) | instid1(VALU_DEP_3)
	v_fma_f32 v49, v36, v40, -v49
	v_fmac_f32_e32 v50, v37, v40
	s_delay_alu instid0(VALU_DEP_4) | instskip(NEXT) | instid1(VALU_DEP_4)
	v_fma_f32 v40, v38, v42, -v51
	v_fmac_f32_e32 v41, v39, v42
	ds_store_2addr_b64 v73, v[49:50], v[40:41] offset0:96 offset1:228
	ds_load_2addr_b64 v[36:39], v44 offset0:104 offset1:236
	s_wait_loadcnt_dscnt 0x0
	v_dual_mul_f32 v40, v37, v46 :: v_dual_mul_f32 v43, v38, v48
	v_dual_mul_f32 v41, v36, v46 :: v_dual_mul_f32 v42, v39, v48
	s_delay_alu instid0(VALU_DEP_2) | instskip(NEXT) | instid1(VALU_DEP_3)
	v_fma_f32 v40, v36, v45, -v40
	v_fmac_f32_e32 v43, v39, v47
	s_delay_alu instid0(VALU_DEP_3) | instskip(NEXT) | instid1(VALU_DEP_4)
	v_fmac_f32_e32 v41, v37, v45
	v_fma_f32 v42, v38, v47, -v42
	ds_store_2addr_b64 v44, v[40:41], v[42:43] offset0:104 offset1:236
.LBB0_17:
	s_wait_alu 0xfffe
	s_or_b32 exec_lo, exec_lo, s1
	global_wb scope:SCOPE_SE
	s_wait_dscnt 0x0
	s_barrier_signal -1
	s_barrier_wait -1
	global_inv scope:SCOPE_SE
	ds_load_2addr_b64 v[36:39], v73 offset1:48
	ds_load_2addr_b64 v[40:43], v73 offset0:132 offset1:180
	ds_load_2addr_b64 v[48:51], v44 offset0:8 offset1:56
	;; [unrolled: 1-line block ×3, first 2 shown]
	s_and_saveexec_b32 s1, vcc_lo
	s_cbranch_execz .LBB0_19
; %bb.18:
	v_add_nc_u32_e32 v28, 0x800, v73
	ds_load_2addr_b64 v[32:35], v73 offset0:96 offset1:228
	ds_load_2addr_b64 v[28:31], v28 offset0:104 offset1:236
.LBB0_19:
	s_wait_alu 0xfffe
	s_or_b32 exec_lo, exec_lo, s1
	s_wait_dscnt 0x1
	v_dual_sub_f32 v48, v36, v48 :: v_dual_sub_f32 v49, v37, v49
	s_wait_dscnt 0x0
	v_dual_sub_f32 v87, v40, v44 :: v_dual_sub_f32 v88, v41, v45
	v_dual_sub_f32 v50, v38, v50 :: v_dual_sub_f32 v51, v39, v51
	s_delay_alu instid0(VALU_DEP_3) | instskip(NEXT) | instid1(VALU_DEP_3)
	v_fma_f32 v36, v36, 2.0, -v48
	v_fma_f32 v40, v40, 2.0, -v87
	v_fma_f32 v37, v37, 2.0, -v49
	v_fma_f32 v41, v41, 2.0, -v88
	v_dual_sub_f32 v89, v42, v46 :: v_dual_sub_f32 v90, v43, v47
	s_delay_alu instid0(VALU_DEP_4) | instskip(SKIP_1) | instid1(VALU_DEP_4)
	v_sub_f32_e32 v44, v36, v40
	v_fma_f32 v91, v38, 2.0, -v50
	v_sub_f32_e32 v45, v37, v41
	s_delay_alu instid0(VALU_DEP_4) | instskip(SKIP_3) | instid1(VALU_DEP_4)
	v_fma_f32 v38, v42, 2.0, -v89
	v_dual_add_f32 v46, v48, v88 :: v_dual_sub_f32 v47, v49, v87
	v_fma_f32 v87, v39, 2.0, -v51
	v_fma_f32 v41, v43, 2.0, -v90
	v_sub_f32_e32 v40, v91, v38
	s_delay_alu instid0(VALU_DEP_4) | instskip(SKIP_1) | instid1(VALU_DEP_4)
	v_fma_f32 v38, v48, 2.0, -v46
	v_sub_f32_e32 v88, v32, v28
	v_dual_sub_f32 v28, v34, v30 :: v_dual_sub_f32 v41, v87, v41
	s_delay_alu instid0(VALU_DEP_4)
	v_fma_f32 v48, v91, 2.0, -v40
	v_sub_f32_e32 v91, v33, v29
	v_sub_f32_e32 v29, v35, v31
	v_fma_f32 v30, v32, 2.0, -v88
	v_fma_f32 v32, v34, 2.0, -v28
	v_dual_add_f32 v42, v50, v90 :: v_dual_sub_f32 v43, v51, v89
	v_fma_f32 v31, v33, 2.0, -v91
	v_fma_f32 v33, v35, 2.0, -v29
	s_delay_alu instid0(VALU_DEP_4)
	v_sub_f32_e32 v32, v30, v32
	v_add_f32_e32 v34, v29, v88
	v_sub_f32_e32 v35, v91, v28
	v_fma_f32 v36, v36, 2.0, -v44
	v_sub_f32_e32 v33, v31, v33
	v_fma_f32 v37, v37, 2.0, -v45
	v_fma_f32 v39, v49, 2.0, -v47
	;; [unrolled: 1-line block ×9, first 2 shown]
	global_wb scope:SCOPE_SE
	s_barrier_signal -1
	s_barrier_wait -1
	global_inv scope:SCOPE_SE
	ds_store_b128 v80, v[36:39]
	ds_store_b128 v80, v[44:47] offset:16
	ds_store_b128 v81, v[48:51]
	ds_store_b128 v81, v[40:43] offset:16
	s_and_saveexec_b32 s1, vcc_lo
	s_cbranch_execz .LBB0_21
; %bb.20:
	ds_store_b128 v79, v[28:31]
	ds_store_b128 v79, v[32:35] offset:16
.LBB0_21:
	s_wait_alu 0xfffe
	s_or_b32 exec_lo, exec_lo, s1
	v_add_nc_u32_e32 v79, 0x800, v73
	global_wb scope:SCOPE_SE
	s_wait_dscnt 0x0
	s_barrier_signal -1
	s_barrier_wait -1
	global_inv scope:SCOPE_SE
	ds_load_2addr_b64 v[36:39], v73 offset1:48
	ds_load_2addr_b64 v[48:51], v73 offset0:132 offset1:180
	ds_load_2addr_b64 v[44:47], v79 offset0:8 offset1:56
	;; [unrolled: 1-line block ×3, first 2 shown]
	s_and_saveexec_b32 s1, vcc_lo
	s_cbranch_execz .LBB0_23
; %bb.22:
	ds_load_2addr_b64 v[28:31], v73 offset0:96 offset1:228
	ds_load_2addr_b64 v[32:35], v79 offset0:104 offset1:236
.LBB0_23:
	s_wait_alu 0xfffe
	s_or_b32 exec_lo, exec_lo, s1
	s_wait_dscnt 0x2
	v_mul_f32_e32 v79, v5, v49
	s_wait_dscnt 0x1
	v_dual_mul_f32 v80, v5, v48 :: v_dual_mul_f32 v81, v7, v45
	s_wait_dscnt 0x0
	v_dual_mul_f32 v87, v7, v44 :: v_dual_mul_f32 v88, v72, v41
	v_fmac_f32_e32 v79, v4, v48
	v_mul_f32_e32 v48, v72, v40
	v_fma_f32 v49, v4, v49, -v80
	v_dual_fmac_f32 v81, v6, v44 :: v_dual_mul_f32 v80, v7, v46
	v_fma_f32 v44, v6, v45, -v87
	v_fmac_f32_e32 v88, v71, v40
	v_fma_f32 v40, v71, v41, -v48
	v_mul_f32_e32 v41, v5, v51
	v_mul_f32_e32 v48, v7, v47
	;; [unrolled: 1-line block ×4, first 2 shown]
	global_wb scope:SCOPE_SE
	v_fmac_f32_e32 v41, v4, v50
	v_fmac_f32_e32 v48, v6, v46
	v_fma_f32 v46, v6, v47, -v80
	v_fmac_f32_e32 v87, v71, v42
	v_dual_mul_f32 v42, v72, v42 :: v_dual_mul_f32 v47, v5, v31
	v_dual_mul_f32 v5, v5, v30 :: v_dual_mul_f32 v50, v7, v33
	v_mul_f32_e32 v7, v7, v32
	v_fma_f32 v45, v4, v51, -v45
	s_delay_alu instid0(VALU_DEP_4) | instskip(NEXT) | instid1(VALU_DEP_4)
	v_fmac_f32_e32 v47, v4, v30
	v_fma_f32 v4, v4, v31, -v5
	v_fmac_f32_e32 v50, v6, v32
	v_mul_f32_e32 v30, v72, v34
	v_fma_f32 v5, v6, v33, -v7
	v_sub_f32_e32 v6, v36, v81
	v_dual_mul_f32 v7, v72, v35 :: v_dual_sub_f32 v48, v38, v48
	v_fma_f32 v42, v71, v43, -v42
	v_sub_f32_e32 v33, v79, v88
	s_delay_alu instid0(VALU_DEP_4) | instskip(NEXT) | instid1(VALU_DEP_4)
	v_fma_f32 v32, v36, 2.0, -v6
	v_dual_sub_f32 v36, v49, v40 :: v_dual_fmac_f32 v7, v71, v34
	v_fma_f32 v51, v38, 2.0, -v48
	v_dual_sub_f32 v43, v37, v44 :: v_dual_sub_f32 v50, v28, v50
	s_delay_alu instid0(VALU_DEP_3) | instskip(SKIP_2) | instid1(VALU_DEP_4)
	v_fma_f32 v34, v49, 2.0, -v36
	v_dual_sub_f32 v49, v39, v46 :: v_dual_sub_f32 v46, v41, v87
	v_fma_f32 v31, v79, 2.0, -v33
	v_fma_f32 v40, v37, 2.0, -v43
	v_fma_f32 v44, v71, v35, -v30
	s_delay_alu instid0(VALU_DEP_4) | instskip(SKIP_4) | instid1(VALU_DEP_4)
	v_fma_f32 v71, v39, 2.0, -v49
	v_fma_f32 v37, v41, 2.0, -v46
	v_sub_f32_e32 v30, v32, v31
	v_dual_sub_f32 v31, v40, v34 :: v_dual_add_f32 v34, v6, v36
	v_sub_f32_e32 v5, v29, v5
	v_sub_f32_e32 v36, v51, v37
	v_dual_sub_f32 v42, v45, v42 :: v_dual_sub_f32 v35, v43, v33
	v_fma_f32 v28, v28, 2.0, -v50
	s_delay_alu instid0(VALU_DEP_4) | instskip(SKIP_1) | instid1(VALU_DEP_4)
	v_fma_f32 v29, v29, 2.0, -v5
	v_fma_f32 v32, v32, 2.0, -v30
	;; [unrolled: 1-line block ×3, first 2 shown]
	v_add_f32_e32 v42, v48, v42
	v_fma_f32 v39, v43, 2.0, -v35
	s_barrier_signal -1
	s_barrier_wait -1
	v_sub_f32_e32 v37, v71, v38
	v_fma_f32 v38, v6, 2.0, -v34
	v_dual_sub_f32 v6, v47, v7 :: v_dual_sub_f32 v7, v4, v44
	v_fma_f32 v33, v40, 2.0, -v31
	v_fma_f32 v40, v51, 2.0, -v36
	global_inv scope:SCOPE_SE
	v_sub_f32_e32 v45, v5, v6
	v_fma_f32 v4, v4, 2.0, -v7
	v_dual_add_f32 v44, v50, v7 :: v_dual_sub_f32 v43, v49, v46
	v_fma_f32 v46, v48, 2.0, -v42
	v_fma_f32 v48, v47, 2.0, -v6
	s_delay_alu instid0(VALU_DEP_4) | instskip(NEXT) | instid1(VALU_DEP_4)
	v_sub_f32_e32 v7, v29, v4
	v_fma_f32 v4, v50, 2.0, -v44
	v_fma_f32 v5, v5, 2.0, -v45
	;; [unrolled: 1-line block ×3, first 2 shown]
	v_sub_f32_e32 v6, v28, v48
	v_fma_f32 v41, v71, 2.0, -v37
	ds_store_2addr_b64 v82, v[32:33], v[38:39] offset1:4
	ds_store_2addr_b64 v82, v[30:31], v[34:35] offset0:8 offset1:12
	ds_store_2addr_b64 v78, v[40:41], v[46:47] offset1:4
	ds_store_2addr_b64 v78, v[36:37], v[42:43] offset0:8 offset1:12
	s_and_saveexec_b32 s1, vcc_lo
	s_cbranch_execz .LBB0_25
; %bb.24:
	v_and_or_b32 v30, 0x3f0, v77, v75
	v_fma_f32 v29, v29, 2.0, -v7
	v_fma_f32 v28, v28, 2.0, -v6
	s_delay_alu instid0(VALU_DEP_3)
	v_lshlrev_b32_e32 v30, 3, v30
	ds_store_2addr_b64 v30, v[28:29], v[4:5] offset1:4
	ds_store_2addr_b64 v30, v[6:7], v[44:45] offset0:8 offset1:12
.LBB0_25:
	s_wait_alu 0xfffe
	s_or_b32 exec_lo, exec_lo, s1
	v_add_nc_u32_e32 v36, 0x800, v73
	v_add_nc_u32_e32 v48, 0x400, v73
	global_wb scope:SCOPE_SE
	s_wait_dscnt 0x0
	s_barrier_signal -1
	s_barrier_wait -1
	global_inv scope:SCOPE_SE
	ds_load_2addr_b64 v[32:35], v73 offset1:48
	ds_load_2addr_b64 v[28:31], v73 offset0:96 offset1:176
	ds_load_2addr_b64 v[40:43], v36 offset0:96 offset1:144
	;; [unrolled: 1-line block ×3, first 2 shown]
	ds_load_b64 v[46:47], v73 offset:3584
	s_and_saveexec_b32 s1, s0
	s_cbranch_execz .LBB0_27
; %bb.26:
	ds_load_2addr_b64 v[4:7], v48 offset0:16 offset1:192
	ds_load_b64 v[44:45], v73 offset:3968
.LBB0_27:
	s_wait_alu 0xfffe
	s_or_b32 exec_lo, exec_lo, s1
	s_wait_dscnt 0x2
	v_dual_mul_f32 v48, v1, v31 :: v_dual_mul_f32 v51, v3, v40
	v_dual_mul_f32 v49, v1, v30 :: v_dual_mul_f32 v50, v3, v41
	s_wait_dscnt 0x1
	s_delay_alu instid0(VALU_DEP_2)
	v_dual_mul_f32 v71, v1, v39 :: v_dual_fmac_f32 v48, v0, v30
	global_wb scope:SCOPE_SE
	s_wait_dscnt 0x0
	v_fma_f32 v31, v0, v31, -v49
	v_dual_mul_f32 v49, v1, v37 :: v_dual_fmac_f32 v50, v2, v40
	v_fma_f32 v40, v2, v41, -v51
	v_dual_mul_f32 v41, v3, v43 :: v_dual_mul_f32 v30, v1, v36
	s_delay_alu instid0(VALU_DEP_3) | instskip(SKIP_1) | instid1(VALU_DEP_2)
	v_dual_fmac_f32 v49, v0, v36 :: v_dual_mul_f32 v36, v3, v42
	s_barrier_signal -1
	v_fmac_f32_e32 v41, v2, v42
	s_delay_alu instid0(VALU_DEP_3)
	v_fma_f32 v51, v0, v37, -v30
	v_mul_f32_e32 v30, v1, v38
	v_fma_f32 v42, v2, v43, -v36
	v_mul_f32_e32 v43, v3, v47
	v_mul_f32_e32 v36, v3, v46
	v_fmac_f32_e32 v71, v0, v38
	v_fma_f32 v72, v0, v39, -v30
	v_add_f32_e32 v30, v48, v50
	v_dual_fmac_f32 v43, v2, v46 :: v_dual_sub_f32 v38, v31, v40
	v_fma_f32 v47, v2, v47, -v36
	v_add_f32_e32 v36, v31, v40
	s_delay_alu instid0(VALU_DEP_4)
	v_fma_f32 v30, -0.5, v30, v32
	v_add_f32_e32 v37, v32, v48
	v_dual_sub_f32 v39, v48, v50 :: v_dual_add_f32 v48, v35, v51
	s_barrier_wait -1
	global_inv scope:SCOPE_SE
	v_add_f32_e32 v32, v37, v50
	v_add_f32_e32 v37, v33, v31
	v_fma_f32 v31, -0.5, v36, v33
	v_fmamk_f32 v36, v38, 0xbf5db3d7, v30
	v_fmac_f32_e32 v30, 0x3f5db3d7, v38
	v_add_f32_e32 v38, v49, v41
	v_add_f32_e32 v33, v37, v40
	v_dual_fmamk_f32 v37, v39, 0x3f5db3d7, v31 :: v_dual_add_f32 v40, v34, v49
	v_fmac_f32_e32 v31, 0xbf5db3d7, v39
	v_add_f32_e32 v39, v51, v42
	v_fma_f32 v34, -0.5, v38, v34
	v_sub_f32_e32 v49, v49, v41
	v_add_f32_e32 v38, v40, v41
	s_delay_alu instid0(VALU_DEP_4) | instskip(SKIP_2) | instid1(VALU_DEP_3)
	v_dual_sub_f32 v46, v51, v42 :: v_dual_fmac_f32 v35, -0.5, v39
	v_dual_add_f32 v39, v48, v42 :: v_dual_add_f32 v42, v71, v43
	v_add_f32_e32 v50, v29, v72
	v_fmamk_f32 v40, v46, 0xbf5db3d7, v34
	s_delay_alu instid0(VALU_DEP_4)
	v_dual_fmac_f32 v34, 0x3f5db3d7, v46 :: v_dual_fmamk_f32 v41, v49, 0x3f5db3d7, v35
	v_fmac_f32_e32 v35, 0xbf5db3d7, v49
	v_sub_f32_e32 v49, v72, v47
	v_sub_f32_e32 v51, v71, v43
	v_add_f32_e32 v46, v72, v47
	v_add_f32_e32 v48, v28, v71
	v_fma_f32 v28, -0.5, v42, v28
	s_delay_alu instid0(VALU_DEP_2) | instskip(NEXT) | instid1(VALU_DEP_2)
	v_dual_fmac_f32 v29, -0.5, v46 :: v_dual_add_f32 v42, v48, v43
	v_fmamk_f32 v46, v49, 0xbf5db3d7, v28
	v_dual_fmac_f32 v28, 0x3f5db3d7, v49 :: v_dual_add_f32 v43, v50, v47
	s_delay_alu instid0(VALU_DEP_3)
	v_fmamk_f32 v47, v51, 0x3f5db3d7, v29
	v_fmac_f32_e32 v29, 0xbf5db3d7, v51
	ds_store_2addr_b64 v86, v[32:33], v[36:37] offset1:16
	ds_store_b64 v86, v[30:31] offset:256
	ds_store_2addr_b64 v85, v[38:39], v[40:41] offset1:16
	ds_store_b64 v85, v[34:35] offset:256
	;; [unrolled: 2-line block ×3, first 2 shown]
	s_and_saveexec_b32 s1, s0
	s_cbranch_execz .LBB0_29
; %bb.28:
	v_dual_mul_f32 v28, v1, v7 :: v_dual_mul_f32 v29, v3, v44
	v_dual_mul_f32 v1, v1, v6 :: v_dual_mul_f32 v30, v3, v45
	s_delay_alu instid0(VALU_DEP_2) | instskip(NEXT) | instid1(VALU_DEP_3)
	v_fma_f32 v3, v2, v45, -v29
	v_fmac_f32_e32 v28, v0, v6
	s_delay_alu instid0(VALU_DEP_3) | instskip(NEXT) | instid1(VALU_DEP_4)
	v_fma_f32 v0, v0, v7, -v1
	v_fmac_f32_e32 v30, v2, v44
	v_mul_u32_u24_e32 v2, 48, v83
	s_delay_alu instid0(VALU_DEP_3) | instskip(SKIP_1) | instid1(VALU_DEP_4)
	v_sub_f32_e32 v29, v0, v3
	v_add_f32_e32 v1, v3, v0
	v_dual_add_f32 v6, v30, v28 :: v_dual_sub_f32 v7, v28, v30
	v_add_f32_e32 v31, v0, v5
	s_delay_alu instid0(VALU_DEP_3) | instskip(NEXT) | instid1(VALU_DEP_3)
	v_fma_f32 v1, -0.5, v1, v5
	v_fma_f32 v0, -0.5, v6, v4
	v_add_f32_e32 v6, v4, v28
	v_or_b32_e32 v28, v2, v76
	s_delay_alu instid0(VALU_DEP_3) | instskip(NEXT) | instid1(VALU_DEP_3)
	v_dual_fmamk_f32 v4, v29, 0xbf5db3d7, v0 :: v_dual_add_f32 v3, v3, v31
	v_dual_fmamk_f32 v5, v7, 0x3f5db3d7, v1 :: v_dual_add_f32 v2, v30, v6
	s_delay_alu instid0(VALU_DEP_3)
	v_dual_fmac_f32 v1, 0xbf5db3d7, v7 :: v_dual_lshlrev_b32 v6, 3, v28
	v_fmac_f32_e32 v0, 0x3f5db3d7, v29
	ds_store_2addr_b64 v6, v[2:3], v[4:5] offset1:16
	ds_store_b64 v6, v[0:1] offset:256
.LBB0_29:
	s_wait_alu 0xfffe
	s_or_b32 exec_lo, exec_lo, s1
	global_wb scope:SCOPE_SE
	s_wait_dscnt 0x0
	s_barrier_signal -1
	s_barrier_wait -1
	global_inv scope:SCOPE_SE
	ds_load_2addr_b64 v[3:6], v73 offset1:48
	ds_load_2addr_b64 v[28:31], v73 offset0:96 offset1:144
	ds_load_2addr_b64 v[32:35], v73 offset0:192 offset1:240
	v_add_nc_u32_e32 v2, 0x800, v73
	s_mov_b32 s2, 0xf07c1f08
	s_mov_b32 s3, 0x3f5f07c1
	s_wait_dscnt 0x2
	v_mul_f32_e32 v7, v25, v6
	ds_load_b64 v[0:1], v73 offset:3840
	ds_load_2addr_b64 v[36:39], v2 offset0:32 offset1:80
	ds_load_2addr_b64 v[40:43], v2 offset0:128 offset1:176
	s_wait_dscnt 0x4
	v_dual_mul_f32 v44, v27, v29 :: v_dual_mul_f32 v45, v21, v31
	v_mul_f32_e32 v25, v25, v5
	s_wait_dscnt 0x3
	v_dual_mul_f32 v21, v21, v30 :: v_dual_mul_f32 v46, v23, v33
	v_mul_f32_e32 v23, v23, v32
	v_dual_mul_f32 v47, v13, v35 :: v_dual_fmac_f32 v44, v26, v28
	v_fmac_f32_e32 v45, v20, v30
	s_delay_alu instid0(VALU_DEP_4)
	v_fma_f32 v20, v20, v31, -v21
	v_fmac_f32_e32 v46, v22, v32
	v_fma_f32 v21, v22, v33, -v23
	s_wait_dscnt 0x1
	v_dual_fmac_f32 v47, v12, v34 :: v_dual_mul_f32 v22, v15, v37
	v_fmac_f32_e32 v7, v24, v5
	v_fma_f32 v5, v24, v6, -v25
	v_mul_f32_e32 v27, v27, v28
	s_delay_alu instid0(VALU_DEP_4) | instskip(NEXT) | instid1(VALU_DEP_3)
	v_dual_mul_f32 v13, v13, v34 :: v_dual_fmac_f32 v22, v14, v36
	v_dual_add_f32 v23, v3, v7 :: v_dual_add_f32 v24, v4, v5
	s_delay_alu instid0(VALU_DEP_3) | instskip(NEXT) | instid1(VALU_DEP_3)
	v_fma_f32 v6, v26, v29, -v27
	v_fma_f32 v12, v12, v35, -v13
	v_mul_f32_e32 v13, v15, v36
	s_delay_alu instid0(VALU_DEP_1) | instskip(SKIP_2) | instid1(VALU_DEP_2)
	v_fma_f32 v13, v14, v37, -v13
	v_add_f32_e32 v15, v23, v44
	v_dual_add_f32 v23, v24, v6 :: v_dual_mul_f32 v24, v9, v39
	v_dual_mul_f32 v9, v9, v38 :: v_dual_add_f32 v14, v15, v45
	s_delay_alu instid0(VALU_DEP_2) | instskip(NEXT) | instid1(VALU_DEP_2)
	v_dual_add_f32 v15, v23, v20 :: v_dual_fmac_f32 v24, v8, v38
	v_fma_f32 v8, v8, v39, -v9
	s_delay_alu instid0(VALU_DEP_2) | instskip(SKIP_1) | instid1(VALU_DEP_1)
	v_dual_add_f32 v9, v14, v46 :: v_dual_add_f32 v14, v15, v21
	s_wait_dscnt 0x0
	v_dual_mul_f32 v15, v17, v43 :: v_dual_add_f32 v14, v14, v12
	s_delay_alu instid0(VALU_DEP_1) | instskip(SKIP_1) | instid1(VALU_DEP_3)
	v_fmac_f32_e32 v15, v16, v42
	v_mul_f32_e32 v23, v11, v41
	v_dual_mul_f32 v11, v11, v40 :: v_dual_add_f32 v14, v14, v13
	s_delay_alu instid0(VALU_DEP_2) | instskip(NEXT) | instid1(VALU_DEP_2)
	v_fmac_f32_e32 v23, v10, v40
	v_fma_f32 v10, v10, v41, -v11
	v_mul_f32_e32 v11, v19, v0
	s_delay_alu instid0(VALU_DEP_4) | instskip(NEXT) | instid1(VALU_DEP_2)
	v_dual_mul_f32 v19, v19, v1 :: v_dual_add_f32 v14, v14, v8
	v_fma_f32 v1, v18, v1, -v11
	v_mul_f32_e32 v11, v17, v42
	s_delay_alu instid0(VALU_DEP_3) | instskip(NEXT) | instid1(VALU_DEP_3)
	v_fmac_f32_e32 v19, v18, v0
	v_sub_f32_e32 v17, v5, v1
	v_add_f32_e32 v5, v5, v1
	v_add_f32_e32 v9, v9, v47
	s_delay_alu instid0(VALU_DEP_3) | instskip(NEXT) | instid1(VALU_DEP_2)
	v_mul_f32_e32 v29, 0xbf7d64f0, v17
	v_dual_mul_f32 v26, 0x3ed4b147, v5 :: v_dual_add_f32 v9, v9, v22
	s_delay_alu instid0(VALU_DEP_1) | instskip(NEXT) | instid1(VALU_DEP_1)
	v_add_f32_e32 v9, v9, v24
	v_dual_add_f32 v0, v9, v23 :: v_dual_add_f32 v9, v14, v10
	v_add_f32_e32 v14, v7, v19
	s_delay_alu instid0(VALU_DEP_1) | instskip(SKIP_1) | instid1(VALU_DEP_2)
	v_dual_sub_f32 v7, v7, v19 :: v_dual_fmamk_f32 v30, v14, 0xbe11bafb, v29
	v_fma_f32 v29, 0xbe11bafb, v14, -v29
	v_add_f32_e32 v30, v3, v30
	v_mul_f32_e32 v32, 0xbf4178ce, v17
	s_delay_alu instid0(VALU_DEP_1)
	v_dual_fmamk_f32 v34, v14, 0xbf27a4f4, v32 :: v_dual_mul_f32 v35, 0xbf27a4f4, v5
	v_mul_f32_e32 v31, 0xbe11bafb, v5
	v_fma_f32 v32, 0xbf27a4f4, v14, -v32
	v_mul_f32_e32 v25, 0x3f575c64, v5
	v_mul_f32_e32 v5, 0xbf75a155, v5
	v_fmamk_f32 v36, v7, 0x3f4178ce, v35
	v_add_f32_e32 v34, v3, v34
	v_add_f32_e32 v32, v3, v32
	s_delay_alu instid0(VALU_DEP_3) | instskip(SKIP_4) | instid1(VALU_DEP_4)
	v_add_f32_e32 v36, v4, v36
	v_fmamk_f32 v28, v7, 0x3f68dda4, v26
	v_fmac_f32_e32 v26, 0xbf68dda4, v7
	v_fmac_f32_e32 v35, 0xbf4178ce, v7
	v_fmamk_f32 v38, v7, 0x3e903f40, v5
	v_dual_fmac_f32 v5, 0xbe903f40, v7 :: v_dual_add_f32 v28, v4, v28
	v_fma_f32 v11, v16, v43, -v11
	v_mul_f32_e32 v16, 0xbf0a6770, v17
	v_add_f32_e32 v26, v4, v26
	v_add_f32_e32 v35, v4, v35
	s_delay_alu instid0(VALU_DEP_4) | instskip(NEXT) | instid1(VALU_DEP_4)
	v_dual_add_f32 v38, v4, v38 :: v_dual_add_f32 v9, v9, v11
	v_fmamk_f32 v18, v14, 0x3f575c64, v16
	v_fma_f32 v16, 0x3f575c64, v14, -v16
	s_delay_alu instid0(VALU_DEP_1) | instskip(NEXT) | instid1(VALU_DEP_3)
	v_dual_add_f32 v1, v9, v1 :: v_dual_add_f32 v16, v3, v16
	v_dual_add_f32 v0, v0, v15 :: v_dual_add_f32 v9, v3, v18
	v_add_f32_e32 v40, v44, v15
	v_fmamk_f32 v18, v7, 0x3f0a6770, v25
	v_fmac_f32_e32 v25, 0xbf0a6770, v7
	s_delay_alu instid0(VALU_DEP_4) | instskip(SKIP_2) | instid1(VALU_DEP_4)
	v_dual_add_f32 v0, v0, v19 :: v_dual_mul_f32 v19, 0xbf68dda4, v17
	v_mul_f32_e32 v17, 0xbe903f40, v17
	v_sub_f32_e32 v39, v6, v11
	v_dual_add_f32 v25, v4, v25 :: v_dual_add_f32 v6, v6, v11
	s_delay_alu instid0(VALU_DEP_4)
	v_fmamk_f32 v27, v14, 0x3ed4b147, v19
	v_fma_f32 v19, 0x3ed4b147, v14, -v19
	v_fmamk_f32 v33, v7, 0x3f7d64f0, v31
	v_fmac_f32_e32 v31, 0xbf7d64f0, v7
	v_fmamk_f32 v37, v14, 0xbf75a155, v17
	v_fma_f32 v14, 0xbf75a155, v14, -v17
	v_sub_f32_e32 v7, v44, v15
	v_mul_f32_e32 v15, 0x3ed4b147, v6
	v_dual_add_f32 v18, v4, v18 :: v_dual_add_f32 v27, v3, v27
	v_add_f32_e32 v19, v3, v19
	v_add_f32_e32 v29, v3, v29
	;; [unrolled: 1-line block ×5, first 2 shown]
	v_fmamk_f32 v14, v7, 0x3f68dda4, v15
	s_delay_alu instid0(VALU_DEP_1) | instskip(NEXT) | instid1(VALU_DEP_1)
	v_dual_fmac_f32 v15, 0xbf68dda4, v7 :: v_dual_add_f32 v14, v14, v18
	v_dual_mul_f32 v18, 0xbf27a4f4, v6 :: v_dual_add_f32 v15, v15, v25
	s_delay_alu instid0(VALU_DEP_1) | instskip(NEXT) | instid1(VALU_DEP_1)
	v_fmamk_f32 v25, v7, 0x3f4178ce, v18
	v_dual_fmac_f32 v18, 0xbf4178ce, v7 :: v_dual_add_f32 v25, v25, v28
	v_dual_mul_f32 v28, 0x3f7d64f0, v39 :: v_dual_add_f32 v33, v4, v33
	v_dual_add_f32 v4, v4, v5 :: v_dual_mul_f32 v11, 0xbf68dda4, v39
	s_delay_alu instid0(VALU_DEP_3) | instskip(NEXT) | instid1(VALU_DEP_2)
	v_dual_mul_f32 v5, 0xbf4178ce, v39 :: v_dual_add_f32 v18, v18, v26
	v_fmamk_f32 v17, v40, 0x3ed4b147, v11
	v_fma_f32 v11, 0x3ed4b147, v40, -v11
	s_delay_alu instid0(VALU_DEP_2) | instskip(NEXT) | instid1(VALU_DEP_4)
	v_add_f32_e32 v9, v17, v9
	v_fmamk_f32 v17, v40, 0xbf27a4f4, v5
	s_delay_alu instid0(VALU_DEP_3) | instskip(SKIP_1) | instid1(VALU_DEP_3)
	v_add_f32_e32 v11, v11, v16
	v_fma_f32 v5, 0xbf27a4f4, v40, -v5
	v_add_f32_e32 v16, v17, v27
	v_mul_f32_e32 v17, 0x3e903f40, v39
	v_mul_f32_e32 v27, 0xbf75a155, v6
	s_delay_alu instid0(VALU_DEP_4) | instskip(NEXT) | instid1(VALU_DEP_3)
	v_add_f32_e32 v5, v5, v19
	v_fmamk_f32 v41, v40, 0xbf75a155, v17
	v_fma_f32 v17, 0xbf75a155, v40, -v17
	s_delay_alu instid0(VALU_DEP_2) | instskip(SKIP_4) | instid1(VALU_DEP_1)
	v_add_f32_e32 v26, v41, v30
	v_mul_f32_e32 v30, 0xbe11bafb, v6
	v_mul_f32_e32 v6, 0x3f575c64, v6
	v_fmamk_f32 v19, v7, 0xbe903f40, v27
	v_fmac_f32_e32 v27, 0x3e903f40, v7
	v_add_f32_e32 v27, v27, v31
	v_fmamk_f32 v31, v7, 0xbf7d64f0, v30
	v_fmac_f32_e32 v30, 0x3f7d64f0, v7
	s_delay_alu instid0(VALU_DEP_1)
	v_dual_add_f32 v30, v30, v35 :: v_dual_fmamk_f32 v35, v7, 0xbf0a6770, v6
	v_fmac_f32_e32 v6, 0x3f0a6770, v7
	v_sub_f32_e32 v7, v45, v23
	v_add_f32_e32 v19, v19, v33
	v_fmamk_f32 v33, v40, 0xbe11bafb, v28
	v_add_f32_e32 v17, v17, v29
	v_mul_f32_e32 v29, 0x3f0a6770, v39
	v_fma_f32 v28, 0xbe11bafb, v40, -v28
	s_delay_alu instid0(VALU_DEP_4) | instskip(NEXT) | instid1(VALU_DEP_3)
	v_dual_add_f32 v4, v6, v4 :: v_dual_add_f32 v33, v33, v34
	v_fmamk_f32 v34, v40, 0x3f575c64, v29
	s_delay_alu instid0(VALU_DEP_3) | instskip(SKIP_1) | instid1(VALU_DEP_3)
	v_add_f32_e32 v28, v28, v32
	v_fma_f32 v29, 0x3f575c64, v40, -v29
	v_add_f32_e32 v32, v34, v37
	v_sub_f32_e32 v34, v20, v10
	v_dual_add_f32 v10, v20, v10 :: v_dual_add_f32 v31, v31, v36
	v_add_f32_e32 v20, v45, v23
	s_delay_alu instid0(VALU_DEP_3) | instskip(NEXT) | instid1(VALU_DEP_3)
	v_dual_add_f32 v3, v29, v3 :: v_dual_mul_f32 v36, 0xbf7d64f0, v34
	v_mul_f32_e32 v23, 0xbe11bafb, v10
	v_mul_f32_e32 v29, 0x3e903f40, v34
	s_delay_alu instid0(VALU_DEP_3) | instskip(NEXT) | instid1(VALU_DEP_3)
	v_fmamk_f32 v37, v20, 0xbe11bafb, v36
	v_fmamk_f32 v6, v7, 0x3f7d64f0, v23
	v_fmac_f32_e32 v23, 0xbf7d64f0, v7
	v_fma_f32 v36, 0xbe11bafb, v20, -v36
	s_delay_alu instid0(VALU_DEP_3) | instskip(SKIP_1) | instid1(VALU_DEP_4)
	v_dual_add_f32 v9, v37, v9 :: v_dual_add_f32 v6, v6, v14
	v_dual_fmamk_f32 v14, v20, 0xbf75a155, v29 :: v_dual_mul_f32 v37, 0xbf75a155, v10
	v_add_f32_e32 v15, v23, v15
	v_mul_f32_e32 v23, 0x3f68dda4, v34
	s_delay_alu instid0(VALU_DEP_3) | instskip(NEXT) | instid1(VALU_DEP_4)
	v_dual_add_f32 v11, v36, v11 :: v_dual_add_f32 v14, v14, v16
	v_fmamk_f32 v16, v7, 0xbe903f40, v37
	v_fma_f32 v29, 0xbf75a155, v20, -v29
	s_delay_alu instid0(VALU_DEP_4) | instskip(SKIP_1) | instid1(VALU_DEP_4)
	v_fmamk_f32 v36, v20, 0x3ed4b147, v23
	v_fma_f32 v23, 0x3ed4b147, v20, -v23
	v_add_f32_e32 v16, v16, v25
	s_delay_alu instid0(VALU_DEP_4) | instskip(NEXT) | instid1(VALU_DEP_4)
	v_add_f32_e32 v5, v29, v5
	v_add_f32_e32 v25, v36, v26
	v_mul_f32_e32 v36, 0x3f575c64, v10
	v_add_f32_e32 v35, v35, v38
	v_mul_f32_e32 v38, 0x3ed4b147, v10
	v_mul_f32_e32 v29, 0xbf0a6770, v34
	;; [unrolled: 1-line block ×4, first 2 shown]
	s_delay_alu instid0(VALU_DEP_4) | instskip(SKIP_1) | instid1(VALU_DEP_2)
	v_fmamk_f32 v26, v7, 0xbf68dda4, v38
	v_dual_fmac_f32 v38, 0x3f68dda4, v7 :: v_dual_add_f32 v17, v23, v17
	v_dual_add_f32 v19, v26, v19 :: v_dual_fmamk_f32 v26, v20, 0x3f575c64, v29
	v_fma_f32 v29, 0x3f575c64, v20, -v29
	s_delay_alu instid0(VALU_DEP_2) | instskip(SKIP_4) | instid1(VALU_DEP_1)
	v_add_f32_e32 v26, v26, v33
	v_add_f32_e32 v33, v46, v24
	;; [unrolled: 1-line block ×3, first 2 shown]
	v_fmamk_f32 v27, v7, 0x3f0a6770, v36
	v_fmac_f32_e32 v36, 0xbf0a6770, v7
	v_dual_add_f32 v28, v29, v28 :: v_dual_add_f32 v29, v36, v30
	v_sub_f32_e32 v30, v21, v8
	s_delay_alu instid0(VALU_DEP_4) | instskip(SKIP_2) | instid1(VALU_DEP_2)
	v_dual_add_f32 v8, v21, v8 :: v_dual_add_f32 v27, v27, v31
	v_fmamk_f32 v31, v20, 0xbf27a4f4, v34
	v_fma_f32 v20, 0xbf27a4f4, v20, -v34
	v_add_f32_e32 v31, v31, v32
	v_mul_f32_e32 v21, 0xbf4178ce, v30
	s_delay_alu instid0(VALU_DEP_3) | instskip(SKIP_2) | instid1(VALU_DEP_4)
	v_dual_fmamk_f32 v32, v7, 0x3f4178ce, v10 :: v_dual_add_f32 v3, v20, v3
	v_mul_f32_e32 v20, 0x3f7d64f0, v30
	v_fmac_f32_e32 v10, 0xbf4178ce, v7
	v_fmamk_f32 v34, v33, 0xbf27a4f4, v21
	s_delay_alu instid0(VALU_DEP_4) | instskip(SKIP_1) | instid1(VALU_DEP_4)
	v_add_f32_e32 v32, v32, v35
	v_fma_f32 v21, 0xbf27a4f4, v33, -v21
	v_add_f32_e32 v4, v10, v4
	s_delay_alu instid0(VALU_DEP_4) | instskip(SKIP_1) | instid1(VALU_DEP_2)
	v_dual_add_f32 v9, v34, v9 :: v_dual_fmamk_f32 v34, v33, 0xbe11bafb, v20
	v_fma_f32 v20, 0xbe11bafb, v33, -v20
	v_add_f32_e32 v14, v34, v14
	s_delay_alu instid0(VALU_DEP_2) | instskip(NEXT) | instid1(VALU_DEP_1)
	v_dual_add_f32 v20, v20, v5 :: v_dual_mul_f32 v5, 0xbe903f40, v30
	v_fmamk_f32 v35, v33, 0xbf75a155, v5
	v_fmac_f32_e32 v37, 0x3e903f40, v7
	v_sub_f32_e32 v7, v46, v24
	v_dual_mul_f32 v24, 0xbf27a4f4, v8 :: v_dual_add_f32 v11, v21, v11
	s_delay_alu instid0(VALU_DEP_3) | instskip(NEXT) | instid1(VALU_DEP_2)
	v_add_f32_e32 v18, v37, v18
	v_fmamk_f32 v10, v7, 0x3f4178ce, v24
	v_fmac_f32_e32 v24, 0xbf4178ce, v7
	s_delay_alu instid0(VALU_DEP_2) | instskip(NEXT) | instid1(VALU_DEP_2)
	v_add_f32_e32 v6, v10, v6
	v_dual_mul_f32 v10, 0xbe11bafb, v8 :: v_dual_add_f32 v15, v24, v15
	v_mul_f32_e32 v21, 0xbf0a6770, v30
	s_delay_alu instid0(VALU_DEP_2) | instskip(SKIP_1) | instid1(VALU_DEP_3)
	v_fmamk_f32 v24, v7, 0xbf7d64f0, v10
	v_fmac_f32_e32 v10, 0x3f7d64f0, v7
	v_fmamk_f32 v34, v33, 0x3f575c64, v21
	v_fma_f32 v21, 0x3f575c64, v33, -v21
	s_delay_alu instid0(VALU_DEP_4) | instskip(SKIP_4) | instid1(VALU_DEP_4)
	v_add_f32_e32 v16, v24, v16
	v_mul_f32_e32 v24, 0x3f575c64, v8
	v_add_f32_e32 v10, v10, v18
	v_add_f32_e32 v18, v34, v25
	v_dual_mul_f32 v34, 0xbf75a155, v8 :: v_dual_add_f32 v17, v21, v17
	v_fmamk_f32 v25, v7, 0x3f0a6770, v24
	v_mul_f32_e32 v8, 0x3ed4b147, v8
	v_fmac_f32_e32 v24, 0xbf0a6770, v7
	s_delay_alu instid0(VALU_DEP_3) | instskip(SKIP_1) | instid1(VALU_DEP_3)
	v_add_f32_e32 v19, v25, v19
	v_fmamk_f32 v21, v7, 0x3e903f40, v34
	v_dual_add_f32 v23, v24, v23 :: v_dual_add_f32 v24, v35, v26
	v_mad_co_u64_u32 v[35:36], null, s4, v74, 0
	s_delay_alu instid0(VALU_DEP_3) | instskip(SKIP_2) | instid1(VALU_DEP_1)
	v_add_f32_e32 v21, v21, v27
	v_mul_f32_e32 v25, 0x3f68dda4, v30
	v_dual_fmamk_f32 v27, v7, 0xbf68dda4, v8 :: v_dual_sub_f32 v30, v12, v13
	v_dual_add_f32 v27, v27, v32 :: v_dual_add_f32 v32, v12, v13
	v_fma_f32 v5, 0xbf75a155, v33, -v5
	s_delay_alu instid0(VALU_DEP_4)
	v_fmamk_f32 v26, v33, 0x3ed4b147, v25
	v_fmac_f32_e32 v34, 0xbe903f40, v7
	v_fmac_f32_e32 v8, 0x3f68dda4, v7
	v_fma_f32 v12, 0x3ed4b147, v33, -v25
	v_add_f32_e32 v28, v5, v28
	v_dual_add_f32 v26, v26, v31 :: v_dual_add_f32 v31, v47, v22
	v_mul_f32_e32 v5, 0xbe903f40, v30
	v_dual_sub_f32 v22, v47, v22 :: v_dual_add_f32 v33, v8, v4
	v_dual_mul_f32 v8, 0x3f0a6770, v30 :: v_dual_add_f32 v25, v12, v3
	s_delay_alu instid0(VALU_DEP_3) | instskip(SKIP_2) | instid1(VALU_DEP_3)
	v_fmamk_f32 v7, v31, 0xbf75a155, v5
	v_mul_f32_e32 v12, 0x3f575c64, v32
	v_fma_f32 v5, 0xbf75a155, v31, -v5
	v_add_f32_e32 v3, v7, v9
	v_fmamk_f32 v7, v31, 0x3f575c64, v8
	s_delay_alu instid0(VALU_DEP_4) | instskip(SKIP_1) | instid1(VALU_DEP_3)
	v_fmamk_f32 v9, v22, 0xbf0a6770, v12
	v_fmac_f32_e32 v12, 0x3f0a6770, v22
	v_dual_add_f32 v7, v7, v14 :: v_dual_mul_f32 v14, 0xbf27a4f4, v32
	s_delay_alu instid0(VALU_DEP_2) | instskip(NEXT) | instid1(VALU_DEP_2)
	v_add_f32_e32 v10, v12, v10
	v_fmamk_f32 v12, v22, 0x3f4178ce, v14
	v_fmac_f32_e32 v14, 0xbf4178ce, v22
	s_delay_alu instid0(VALU_DEP_2) | instskip(NEXT) | instid1(VALU_DEP_2)
	v_dual_mul_f32 v13, 0xbf75a155, v32 :: v_dual_add_f32 v12, v12, v19
	v_add_f32_e32 v14, v14, v23
	s_delay_alu instid0(VALU_DEP_2)
	v_fmamk_f32 v4, v22, 0x3e903f40, v13
	v_fmac_f32_e32 v13, 0xbe903f40, v22
	v_add_f32_e32 v5, v5, v11
	v_fma_f32 v11, 0x3f575c64, v31, -v8
	v_add_f32_e32 v8, v9, v16
	v_add_f32_e32 v4, v4, v6
	v_dual_add_f32 v6, v13, v15 :: v_dual_mul_f32 v15, 0x3f68dda4, v30
	v_add_f32_e32 v29, v34, v29
	v_mul_f32_e32 v13, 0xbf4178ce, v30
	v_dual_add_f32 v9, v11, v20 :: v_dual_mul_f32 v20, 0xbf7d64f0, v30
	s_delay_alu instid0(VALU_DEP_4) | instskip(SKIP_1) | instid1(VALU_DEP_2)
	v_fmamk_f32 v16, v31, 0x3ed4b147, v15
	v_fma_f32 v19, 0x3ed4b147, v31, -v15
	v_add_f32_e32 v15, v16, v24
	v_mul_f32_e32 v24, 0xbe11bafb, v32
	v_fmamk_f32 v11, v31, 0xbf27a4f4, v13
	v_fma_f32 v13, 0xbf27a4f4, v31, -v13
	s_delay_alu instid0(VALU_DEP_2) | instskip(NEXT) | instid1(VALU_DEP_2)
	v_dual_add_f32 v11, v11, v18 :: v_dual_mul_f32 v18, 0x3ed4b147, v32
	v_add_f32_e32 v13, v13, v17
	s_delay_alu instid0(VALU_DEP_2) | instskip(SKIP_1) | instid1(VALU_DEP_2)
	v_fmamk_f32 v17, v22, 0xbf68dda4, v18
	v_fmac_f32_e32 v18, 0x3f68dda4, v22
	v_dual_add_f32 v16, v17, v21 :: v_dual_fmamk_f32 v21, v22, 0x3f7d64f0, v24
	v_dual_fmac_f32 v24, 0xbf7d64f0, v22 :: v_dual_add_f32 v17, v19, v28
	v_fmamk_f32 v19, v31, 0xbe11bafb, v20
	v_fma_f32 v28, 0xbe11bafb, v31, -v20
	s_delay_alu instid0(VALU_DEP_4) | instskip(NEXT) | instid1(VALU_DEP_4)
	v_add_f32_e32 v20, v21, v27
	v_add_f32_e32 v22, v24, v33
	v_mad_co_u64_u32 v[33:34], null, s6, v52, 0
	v_dual_add_f32 v19, v19, v26 :: v_dual_add_f32 v18, v18, v29
	v_add_f32_e32 v21, v28, v25
	s_delay_alu instid0(VALU_DEP_3) | instskip(NEXT) | instid1(VALU_DEP_1)
	v_mad_co_u64_u32 v[37:38], null, s7, v52, v[34:35]
	v_mad_co_u64_u32 v[38:39], null, s5, v74, v[36:37]
	v_mov_b32_e32 v34, v37
	s_delay_alu instid0(VALU_DEP_1) | instskip(NEXT) | instid1(VALU_DEP_3)
	v_lshlrev_b64_e32 v[33:34], 3, v[33:34]
	v_mov_b32_e32 v36, v38
	ds_store_2addr_b64 v73, v[0:1], v[3:4] offset1:48
	ds_store_2addr_b64 v73, v[7:8], v[11:12] offset0:96 offset1:144
	ds_store_2addr_b64 v73, v[15:16], v[19:20] offset0:192 offset1:240
	;; [unrolled: 1-line block ×4, first 2 shown]
	ds_store_b64 v73, v[5:6] offset:3840
	global_wb scope:SCOPE_SE
	s_wait_dscnt 0x0
	s_barrier_signal -1
	s_barrier_wait -1
	global_inv scope:SCOPE_SE
	ds_load_2addr_b64 v[3:6], v73 offset1:48
	ds_load_2addr_b64 v[7:10], v73 offset0:132 offset1:180
	ds_load_2addr_b64 v[11:14], v2 offset0:8 offset1:56
	;; [unrolled: 1-line block ×3, first 2 shown]
	v_lshlrev_b64_e32 v[35:36], 3, v[35:36]
	v_add_co_u32 v33, s0, s8, v33
	s_wait_alu 0xf1ff
	v_add_co_ci_u32_e64 v34, s0, s9, v34, s0
	s_movk_i32 s8, 0xfea4
	s_mov_b32 s9, -1
	s_wait_dscnt 0x3
	v_mul_f32_e32 v0, v66, v4
	s_wait_dscnt 0x2
	v_mul_f32_e32 v19, v70, v8
	s_wait_dscnt 0x1
	v_dual_mul_f32 v20, v70, v7 :: v_dual_mul_f32 v21, v68, v12
	v_mul_f32_e32 v22, v68, v11
	v_fmac_f32_e32 v0, v65, v3
	v_mul_f32_e32 v3, v66, v3
	v_fmac_f32_e32 v19, v69, v7
	v_fma_f32 v20, v69, v8, -v20
	v_mul_f32_e32 v27, v56, v10
	v_cvt_f64_f32_e32 v[0:1], v0
	v_fma_f32 v3, v65, v4, -v3
	v_fmac_f32_e32 v21, v67, v11
	v_fma_f32 v22, v67, v12, -v22
	v_cvt_f64_f32_e32 v[7:8], v19
	v_cvt_f64_f32_e32 v[11:12], v20
	;; [unrolled: 1-line block ×3, first 2 shown]
	s_wait_dscnt 0x0
	v_mul_f32_e32 v23, v58, v16
	v_dual_mul_f32 v24, v58, v15 :: v_dual_mul_f32 v25, v64, v6
	v_mul_f32_e32 v26, v64, v5
	v_fmac_f32_e32 v27, v55, v9
	v_mul_f32_e32 v9, v56, v9
	v_mul_f32_e32 v30, v62, v13
	;; [unrolled: 1-line block ×4, first 2 shown]
	v_dual_mul_f32 v32, v60, v17 :: v_dual_fmac_f32 v23, v57, v15
	v_fma_f32 v15, v57, v16, -v24
	v_fmac_f32_e32 v25, v63, v5
	v_fma_f32 v26, v63, v6, -v26
	v_fma_f32 v9, v55, v10, -v9
	;; [unrolled: 1-line block ×3, first 2 shown]
	v_fmac_f32_e32 v29, v61, v13
	v_fmac_f32_e32 v31, v59, v17
	v_fma_f32 v32, v59, v18, -v32
	v_cvt_f64_f32_e32 v[19:20], v21
	v_cvt_f64_f32_e32 v[21:22], v22
	;; [unrolled: 1-line block ×12, first 2 shown]
	s_wait_alu 0xfffe
	v_mul_f64_e32 v[0:1], s[2:3], v[0:1]
	v_mul_f64_e32 v[7:8], s[2:3], v[7:8]
	;; [unrolled: 1-line block ×16, first 2 shown]
	v_cvt_f32_f64_e32 v0, v[0:1]
	v_cvt_f32_f64_e32 v7, v[7:8]
	;; [unrolled: 1-line block ×4, first 2 shown]
	v_add_co_u32 v3, s0, v33, v35
	s_wait_alu 0xf1ff
	v_add_co_ci_u32_e64 v4, s0, v34, v36, s0
	s_mul_u64 s[0:1], s[4:5], 0x84
	s_mul_u64 s[4:5], s[4:5], s[8:9]
	s_wait_alu 0xfffe
	s_lshl_b64 s[6:7], s[0:1], 3
	s_lshl_b64 s[4:5], s[4:5], 3
	v_cvt_f32_f64_e32 v11, v[19:20]
	v_cvt_f32_f64_e32 v12, v[21:22]
	;; [unrolled: 1-line block ×8, first 2 shown]
	s_wait_alu 0xfffe
	v_add_co_u32 v17, s0, v3, s6
	v_cvt_f32_f64_e32 v19, v[27:28]
	v_cvt_f32_f64_e32 v9, v[13:14]
	s_wait_alu 0xf1ff
	v_add_co_ci_u32_e64 v18, s0, s7, v4, s0
	v_cvt_f32_f64_e32 v13, v[29:30]
	v_cvt_f32_f64_e32 v14, v[31:32]
	v_add_co_u32 v21, s0, v17, s6
	s_wait_alu 0xf1ff
	v_add_co_ci_u32_e64 v22, s0, s7, v18, s0
	global_store_b64 v[3:4], v[0:1], off
	v_add_co_u32 v23, s0, v21, s6
	s_wait_alu 0xf1ff
	v_add_co_ci_u32_e64 v24, s0, s7, v22, s0
	global_store_b64 v[17:18], v[7:8], off
	v_add_co_u32 v25, s0, v23, s4
	s_wait_alu 0xf1ff
	v_add_co_ci_u32_e64 v26, s0, s5, v24, s0
	s_delay_alu instid0(VALU_DEP_2) | instskip(SKIP_1) | instid1(VALU_DEP_2)
	v_add_co_u32 v3, s0, v25, s6
	s_wait_alu 0xf1ff
	v_add_co_ci_u32_e64 v4, s0, s7, v26, s0
	s_delay_alu instid0(VALU_DEP_2) | instskip(SKIP_1) | instid1(VALU_DEP_2)
	v_add_co_u32 v7, s0, v3, s6
	s_wait_alu 0xf1ff
	v_add_co_ci_u32_e64 v8, s0, s7, v4, s0
	global_store_b64 v[21:22], v[11:12], off
	v_add_co_u32 v0, s0, v7, s6
	s_wait_alu 0xf1ff
	v_add_co_ci_u32_e64 v1, s0, s7, v8, s0
	s_clause 0x1
	global_store_b64 v[23:24], v[5:6], off
	global_store_b64 v[25:26], v[15:16], off
	;; [unrolled: 1-line block ×5, first 2 shown]
	s_and_b32 exec_lo, exec_lo, vcc_lo
	s_cbranch_execz .LBB0_31
; %bb.30:
	s_clause 0x3
	global_load_b64 v[11:12], v[53:54], off offset:768
	global_load_b64 v[13:14], v[53:54], off offset:1824
	;; [unrolled: 1-line block ×4, first 2 shown]
	ds_load_2addr_b64 v[3:6], v73 offset0:96 offset1:228
	ds_load_2addr_b64 v[7:10], v2 offset0:104 offset1:236
	v_add_co_u32 v0, vcc_lo, v0, s4
	s_wait_alu 0xfffd
	v_add_co_ci_u32_e32 v1, vcc_lo, s5, v1, vcc_lo
	s_wait_loadcnt_dscnt 0x201
	v_dual_mul_f32 v2, v4, v12 :: v_dual_mul_f32 v19, v6, v14
	s_wait_loadcnt_dscnt 0x0
	v_dual_mul_f32 v12, v3, v12 :: v_dual_mul_f32 v21, v10, v18
	v_mul_f32_e32 v14, v5, v14
	s_delay_alu instid0(VALU_DEP_3) | instskip(NEXT) | instid1(VALU_DEP_3)
	v_dual_mul_f32 v20, v8, v16 :: v_dual_fmac_f32 v19, v5, v13
	v_dual_mul_f32 v16, v7, v16 :: v_dual_fmac_f32 v21, v9, v17
	v_mul_f32_e32 v18, v9, v18
	v_fmac_f32_e32 v2, v3, v11
	v_fma_f32 v4, v11, v4, -v12
	v_fma_f32 v11, v13, v6, -v14
	v_fmac_f32_e32 v20, v7, v15
	v_fma_f32 v12, v15, v8, -v16
	v_fma_f32 v16, v17, v10, -v18
	v_cvt_f64_f32_e32 v[2:3], v2
	v_cvt_f64_f32_e32 v[4:5], v4
	;; [unrolled: 1-line block ×8, first 2 shown]
	v_mul_f64_e32 v[2:3], s[2:3], v[2:3]
	v_mul_f64_e32 v[4:5], s[2:3], v[4:5]
	;; [unrolled: 1-line block ×8, first 2 shown]
	v_cvt_f32_f64_e32 v2, v[2:3]
	v_cvt_f32_f64_e32 v3, v[4:5]
	;; [unrolled: 1-line block ×8, first 2 shown]
	v_add_co_u32 v10, vcc_lo, v0, s6
	s_wait_alu 0xfffd
	v_add_co_ci_u32_e32 v11, vcc_lo, s7, v1, vcc_lo
	s_delay_alu instid0(VALU_DEP_2) | instskip(SKIP_1) | instid1(VALU_DEP_2)
	v_add_co_u32 v12, vcc_lo, v10, s6
	s_wait_alu 0xfffd
	v_add_co_ci_u32_e32 v13, vcc_lo, s7, v11, vcc_lo
	s_delay_alu instid0(VALU_DEP_2) | instskip(SKIP_1) | instid1(VALU_DEP_2)
	v_add_co_u32 v14, vcc_lo, v12, s6
	s_wait_alu 0xfffd
	v_add_co_ci_u32_e32 v15, vcc_lo, s7, v13, vcc_lo
	global_store_b64 v[0:1], v[2:3], off
	global_store_b64 v[10:11], v[4:5], off
	;; [unrolled: 1-line block ×4, first 2 shown]
.LBB0_31:
	s_nop 0
	s_sendmsg sendmsg(MSG_DEALLOC_VGPRS)
	s_endpgm
	.section	.rodata,"a",@progbits
	.p2align	6, 0x0
	.amdhsa_kernel bluestein_single_fwd_len528_dim1_sp_op_CI_CI
		.amdhsa_group_segment_fixed_size 4224
		.amdhsa_private_segment_fixed_size 0
		.amdhsa_kernarg_size 104
		.amdhsa_user_sgpr_count 2
		.amdhsa_user_sgpr_dispatch_ptr 0
		.amdhsa_user_sgpr_queue_ptr 0
		.amdhsa_user_sgpr_kernarg_segment_ptr 1
		.amdhsa_user_sgpr_dispatch_id 0
		.amdhsa_user_sgpr_private_segment_size 0
		.amdhsa_wavefront_size32 1
		.amdhsa_uses_dynamic_stack 0
		.amdhsa_enable_private_segment 0
		.amdhsa_system_sgpr_workgroup_id_x 1
		.amdhsa_system_sgpr_workgroup_id_y 0
		.amdhsa_system_sgpr_workgroup_id_z 0
		.amdhsa_system_sgpr_workgroup_info 0
		.amdhsa_system_vgpr_workitem_id 0
		.amdhsa_next_free_vgpr 185
		.amdhsa_next_free_sgpr 18
		.amdhsa_reserve_vcc 1
		.amdhsa_float_round_mode_32 0
		.amdhsa_float_round_mode_16_64 0
		.amdhsa_float_denorm_mode_32 3
		.amdhsa_float_denorm_mode_16_64 3
		.amdhsa_fp16_overflow 0
		.amdhsa_workgroup_processor_mode 1
		.amdhsa_memory_ordered 1
		.amdhsa_forward_progress 0
		.amdhsa_round_robin_scheduling 0
		.amdhsa_exception_fp_ieee_invalid_op 0
		.amdhsa_exception_fp_denorm_src 0
		.amdhsa_exception_fp_ieee_div_zero 0
		.amdhsa_exception_fp_ieee_overflow 0
		.amdhsa_exception_fp_ieee_underflow 0
		.amdhsa_exception_fp_ieee_inexact 0
		.amdhsa_exception_int_div_zero 0
	.end_amdhsa_kernel
	.text
.Lfunc_end0:
	.size	bluestein_single_fwd_len528_dim1_sp_op_CI_CI, .Lfunc_end0-bluestein_single_fwd_len528_dim1_sp_op_CI_CI
                                        ; -- End function
	.section	.AMDGPU.csdata,"",@progbits
; Kernel info:
; codeLenInByte = 12068
; NumSgprs: 20
; NumVgprs: 185
; ScratchSize: 0
; MemoryBound: 0
; FloatMode: 240
; IeeeMode: 1
; LDSByteSize: 4224 bytes/workgroup (compile time only)
; SGPRBlocks: 2
; VGPRBlocks: 23
; NumSGPRsForWavesPerEU: 20
; NumVGPRsForWavesPerEU: 185
; Occupancy: 8
; WaveLimiterHint : 1
; COMPUTE_PGM_RSRC2:SCRATCH_EN: 0
; COMPUTE_PGM_RSRC2:USER_SGPR: 2
; COMPUTE_PGM_RSRC2:TRAP_HANDLER: 0
; COMPUTE_PGM_RSRC2:TGID_X_EN: 1
; COMPUTE_PGM_RSRC2:TGID_Y_EN: 0
; COMPUTE_PGM_RSRC2:TGID_Z_EN: 0
; COMPUTE_PGM_RSRC2:TIDIG_COMP_CNT: 0
	.text
	.p2alignl 7, 3214868480
	.fill 96, 4, 3214868480
	.type	__hip_cuid_cd853761c5315a0c,@object ; @__hip_cuid_cd853761c5315a0c
	.section	.bss,"aw",@nobits
	.globl	__hip_cuid_cd853761c5315a0c
__hip_cuid_cd853761c5315a0c:
	.byte	0                               ; 0x0
	.size	__hip_cuid_cd853761c5315a0c, 1

	.ident	"AMD clang version 19.0.0git (https://github.com/RadeonOpenCompute/llvm-project roc-6.4.0 25133 c7fe45cf4b819c5991fe208aaa96edf142730f1d)"
	.section	".note.GNU-stack","",@progbits
	.addrsig
	.addrsig_sym __hip_cuid_cd853761c5315a0c
	.amdgpu_metadata
---
amdhsa.kernels:
  - .args:
      - .actual_access:  read_only
        .address_space:  global
        .offset:         0
        .size:           8
        .value_kind:     global_buffer
      - .actual_access:  read_only
        .address_space:  global
        .offset:         8
        .size:           8
        .value_kind:     global_buffer
      - .actual_access:  read_only
        .address_space:  global
        .offset:         16
        .size:           8
        .value_kind:     global_buffer
      - .actual_access:  read_only
        .address_space:  global
        .offset:         24
        .size:           8
        .value_kind:     global_buffer
      - .actual_access:  read_only
        .address_space:  global
        .offset:         32
        .size:           8
        .value_kind:     global_buffer
      - .offset:         40
        .size:           8
        .value_kind:     by_value
      - .address_space:  global
        .offset:         48
        .size:           8
        .value_kind:     global_buffer
      - .address_space:  global
        .offset:         56
        .size:           8
        .value_kind:     global_buffer
      - .address_space:  global
        .offset:         64
        .size:           8
        .value_kind:     global_buffer
      - .address_space:  global
        .offset:         72
        .size:           8
        .value_kind:     global_buffer
      - .offset:         80
        .size:           4
        .value_kind:     by_value
      - .address_space:  global
        .offset:         88
        .size:           8
        .value_kind:     global_buffer
      - .address_space:  global
        .offset:         96
        .size:           8
        .value_kind:     global_buffer
    .group_segment_fixed_size: 4224
    .kernarg_segment_align: 8
    .kernarg_segment_size: 104
    .language:       OpenCL C
    .language_version:
      - 2
      - 0
    .max_flat_workgroup_size: 48
    .name:           bluestein_single_fwd_len528_dim1_sp_op_CI_CI
    .private_segment_fixed_size: 0
    .sgpr_count:     20
    .sgpr_spill_count: 0
    .symbol:         bluestein_single_fwd_len528_dim1_sp_op_CI_CI.kd
    .uniform_work_group_size: 1
    .uses_dynamic_stack: false
    .vgpr_count:     185
    .vgpr_spill_count: 0
    .wavefront_size: 32
    .workgroup_processor_mode: 1
amdhsa.target:   amdgcn-amd-amdhsa--gfx1201
amdhsa.version:
  - 1
  - 2
...

	.end_amdgpu_metadata
